;; amdgpu-corpus repo=ROCm/rocFFT kind=compiled arch=gfx1100 opt=O3
	.text
	.amdgcn_target "amdgcn-amd-amdhsa--gfx1100"
	.amdhsa_code_object_version 6
	.protected	bluestein_single_fwd_len1960_dim1_sp_op_CI_CI ; -- Begin function bluestein_single_fwd_len1960_dim1_sp_op_CI_CI
	.globl	bluestein_single_fwd_len1960_dim1_sp_op_CI_CI
	.p2align	8
	.type	bluestein_single_fwd_len1960_dim1_sp_op_CI_CI,@function
bluestein_single_fwd_len1960_dim1_sp_op_CI_CI: ; @bluestein_single_fwd_len1960_dim1_sp_op_CI_CI
; %bb.0:
	s_load_b128 s[16:19], s[0:1], 0x28
	v_mul_u32_u24_e32 v1, 0x493, v0
	s_mov_b32 s2, exec_lo
	v_mov_b32_e32 v7, 0
	s_delay_alu instid0(VALU_DEP_2) | instskip(NEXT) | instid1(VALU_DEP_1)
	v_lshrrev_b32_e32 v1, 16, v1
	v_add_nc_u32_e32 v6, s15, v1
	s_waitcnt lgkmcnt(0)
	s_delay_alu instid0(VALU_DEP_1)
	v_cmpx_gt_u64_e64 s[16:17], v[6:7]
	s_cbranch_execz .LBB0_23
; %bb.1:
	s_clause 0x1
	s_load_b128 s[4:7], s[0:1], 0x18
	s_load_b64 s[12:13], s[0:1], 0x0
	v_mul_lo_u16 v1, v1, 56
	v_mov_b32_e32 v4, v6
	s_delay_alu instid0(VALU_DEP_2) | instskip(NEXT) | instid1(VALU_DEP_1)
	v_sub_nc_u16 v0, v0, v1
	v_and_b32_e32 v131, 0xffff, v0
	s_delay_alu instid0(VALU_DEP_1)
	v_lshlrev_b32_e32 v255, 3, v131
	v_or_b32_e32 v82, 0x1c0, v131
	s_waitcnt lgkmcnt(0)
	s_load_b128 s[8:11], s[4:5], 0x0
	s_clause 0x7
	global_load_b64 v[118:119], v255, s[12:13] offset:3920
	global_load_b64 v[138:139], v255, s[12:13]
	global_load_b64 v[122:123], v255, s[12:13] offset:448
	global_load_b64 v[124:125], v255, s[12:13] offset:896
	;; [unrolled: 1-line block ×6, first 2 shown]
	v_add_co_u32 v0, s2, s12, v255
	s_delay_alu instid0(VALU_DEP_1) | instskip(NEXT) | instid1(VALU_DEP_2)
	v_add_co_ci_u32_e64 v1, null, s13, 0, s2
	v_add_co_u32 v70, vcc_lo, 0x1000, v0
	s_delay_alu instid0(VALU_DEP_2)
	v_add_co_ci_u32_e32 v71, vcc_lo, 0, v1, vcc_lo
	v_add_co_u32 v74, vcc_lo, 0x2000, v0
	v_add_co_ci_u32_e32 v75, vcc_lo, 0, v1, vcc_lo
	v_add_co_u32 v72, vcc_lo, 0x3000, v0
	scratch_store_b64 off, v[0:1], off offset:12 ; 8-byte Folded Spill
	v_add_co_ci_u32_e32 v73, vcc_lo, 0, v1, vcc_lo
	s_waitcnt lgkmcnt(0)
	v_mad_u64_u32 v[0:1], null, s10, v6, 0
	v_mad_u64_u32 v[2:3], null, s8, v131, 0
	s_clause 0x9
	global_load_b64 v[144:145], v[70:71], off offset:3744
	global_load_b64 v[140:141], v[74:75], off offset:3568
	;; [unrolled: 1-line block ×10, first 2 shown]
	scratch_store_b64 off, v[4:5], off offset:364 ; 8-byte Folded Spill
	s_mul_i32 s3, s9, 0x1ea
	s_mul_hi_u32 s4, s8, 0x1ea
	s_mul_i32 s2, s8, 0x1ea
	s_add_i32 s3, s4, s3
	v_mad_u64_u32 v[4:5], null, s11, v6, v[1:2]
	s_lshl_b64 s[14:15], s[2:3], 3
	s_mul_hi_u32 s10, s8, 0xffffd3d0
	s_mul_i32 s5, s9, 0xffffd3d0
	s_mul_i32 s2, s8, 0xffffd3d0
	s_sub_i32 s3, s10, s8
	s_clause 0x4
	global_load_b64 v[142:143], v[74:75], off offset:4016
	global_load_b64 v[126:127], v[72:73], off offset:368
	;; [unrolled: 1-line block ×5, first 2 shown]
	v_mad_u64_u32 v[5:6], null, s9, v131, v[3:4]
	v_mov_b32_e32 v1, v4
	s_add_i32 s3, s3, s5
	s_clause 0x3
	global_load_b64 v[106:107], v[70:71], off offset:2064
	global_load_b64 v[86:87], v[70:71], off offset:2512
	;; [unrolled: 1-line block ×4, first 2 shown]
	s_load_b64 s[10:11], s[0:1], 0x38
	v_lshlrev_b64 v[0:1], 3, v[0:1]
	v_mov_b32_e32 v3, v5
	s_delay_alu instid0(VALU_DEP_1) | instskip(NEXT) | instid1(VALU_DEP_3)
	v_lshlrev_b64 v[4:5], 3, v[2:3]
	v_add_co_u32 v2, vcc_lo, s18, v0
	s_delay_alu instid0(VALU_DEP_4) | instskip(NEXT) | instid1(VALU_DEP_2)
	v_add_co_ci_u32_e32 v3, vcc_lo, s19, v1, vcc_lo
	v_add_co_u32 v0, vcc_lo, v2, v4
	s_delay_alu instid0(VALU_DEP_2) | instskip(NEXT) | instid1(VALU_DEP_2)
	v_add_co_ci_u32_e32 v1, vcc_lo, v3, v5, vcc_lo
	v_add_co_u32 v4, vcc_lo, v0, s14
	s_delay_alu instid0(VALU_DEP_2) | instskip(NEXT) | instid1(VALU_DEP_2)
	;; [unrolled: 3-line block ×3, first 2 shown]
	v_add_co_ci_u32_e32 v7, vcc_lo, s15, v5, vcc_lo
	v_add_co_u32 v8, vcc_lo, v6, s14
	s_delay_alu instid0(VALU_DEP_2)
	v_add_co_ci_u32_e32 v9, vcc_lo, s15, v7, vcc_lo
	s_clause 0x3
	global_load_b64 v[14:15], v[0:1], off
	global_load_b64 v[16:17], v[4:5], off
	;; [unrolled: 1-line block ×4, first 2 shown]
	v_add_co_u32 v10, vcc_lo, v8, s2
	v_add_co_ci_u32_e32 v11, vcc_lo, s3, v9, vcc_lo
	s_delay_alu instid0(VALU_DEP_2) | instskip(NEXT) | instid1(VALU_DEP_2)
	v_add_co_u32 v12, vcc_lo, v10, s14
	v_add_co_ci_u32_e32 v13, vcc_lo, s15, v11, vcc_lo
	global_load_b64 v[10:11], v[10:11], off
	v_add_co_u32 v0, vcc_lo, v12, s14
	v_add_co_ci_u32_e32 v1, vcc_lo, s15, v13, vcc_lo
	global_load_b64 v[12:13], v[12:13], off
	;; [unrolled: 3-line block ×23, first 2 shown]
	v_add_co_u32 v4, vcc_lo, v0, s2
	v_add_co_ci_u32_e32 v5, vcc_lo, s3, v1, vcc_lo
	s_mov_b32 s2, 0
	s_delay_alu instid0(VALU_DEP_2) | instskip(NEXT) | instid1(VALU_DEP_2)
	v_add_co_u32 v6, vcc_lo, v4, s14
	v_add_co_ci_u32_e32 v7, vcc_lo, s15, v5, vcc_lo
	global_load_b64 v[64:65], v[0:1], off
	global_load_b64 v[94:95], v[72:73], off offset:2160
	global_load_b64 v[66:67], v[4:5], off
	global_load_b64 v[108:109], v255, s[12:13] offset:3136
	global_load_b64 v[68:69], v[6:7], off
	v_add_co_u32 v4, vcc_lo, v6, s14
	v_add_co_ci_u32_e32 v5, vcc_lo, s15, v7, vcc_lo
	s_clause 0x1
	global_load_b64 v[96:97], v[70:71], off offset:2960
	global_load_b64 v[104:105], v[74:75], off offset:2784
	v_add_co_u32 v0, vcc_lo, v4, s14
	v_add_co_ci_u32_e32 v1, vcc_lo, s15, v5, vcc_lo
	s_clause 0x2
	scratch_store_b64 off, v[70:71], off offset:36
	scratch_store_b64 off, v[74:75], off offset:28
	;; [unrolled: 1-line block ×3, first 2 shown]
	global_load_b64 v[70:71], v[4:5], off
	global_load_b64 v[98:99], v[72:73], off offset:2608
	global_load_b64 v[72:73], v[0:1], off
	s_load_b128 s[4:7], s[6:7], 0x0
	s_waitcnt vmcnt(62)
	s_clause 0x1
	scratch_store_b64 off, v[118:119], off offset:180
	scratch_store_b64 off, v[138:139], off offset:252
	s_waitcnt vmcnt(61)
	scratch_store_b64 off, v[122:123], off offset:196 ; 8-byte Folded Spill
	s_waitcnt vmcnt(55)
	scratch_store_b64 off, v[144:145], off offset:276 ; 8-byte Folded Spill
	;; [unrolled: 2-line block ×3, first 2 shown]
	s_waitcnt vmcnt(36)
	v_mul_f32_e32 v74, v15, v139
	s_waitcnt vmcnt(35)
	v_mul_f32_e32 v76, v17, v119
	v_mul_f32_e32 v77, v16, v119
	s_delay_alu instid0(VALU_DEP_2) | instskip(NEXT) | instid1(VALU_DEP_2)
	v_fmac_f32_e32 v76, v16, v118
	v_fma_f32 v77, v17, v118, -v77
	s_waitcnt vmcnt(33)
	v_dual_mul_f32 v16, v21, v141 :: v_dual_mul_f32 v75, v14, v139
	v_dual_mul_f32 v17, v20, v141 :: v_dual_fmac_f32 v74, v14, v138
	v_dual_mul_f32 v14, v19, v145 :: v_dual_add_nc_u32 v7, 0x2000, v255
	v_add_nc_u32_e32 v5, 0x3000, v255
	v_add_nc_u32_e32 v79, 0x2400, v255
	;; [unrolled: 1-line block ×4, first 2 shown]
	v_fmac_f32_e32 v14, v18, v144
	v_fmac_f32_e32 v16, v20, v140
	v_fma_f32 v75, v15, v138, -v75
	s_waitcnt vmcnt(32)
	v_dual_mul_f32 v15, v18, v145 :: v_dual_mul_f32 v18, v11, v123
	v_mul_f32_e32 v81, v10, v123
	v_fma_f32 v17, v21, v140, -v17
	v_add_nc_u32_e32 v6, 0x800, v255
	s_delay_alu instid0(VALU_DEP_4)
	v_fma_f32 v15, v19, v144, -v15
	v_fmac_f32_e32 v18, v10, v122
	s_waitcnt vmcnt(31)
	v_mul_f32_e32 v10, v13, v149
	v_fma_f32 v19, v11, v122, -v81
	v_mul_f32_e32 v11, v12, v149
	ds_store_b64 v255, v[76:77] offset:3920
	ds_store_b64 v255, v[14:15] offset:7840
	;; [unrolled: 1-line block ×3, first 2 shown]
	s_waitcnt vmcnt(30)
	v_mul_f32_e32 v14, v23, v147
	v_dual_fmac_f32 v10, v12, v148 :: v_dual_mul_f32 v15, v22, v147
	v_add_nc_u32_e32 v8, 0x1000, v255
	v_fma_f32 v11, v13, v148, -v11
	ds_store_2addr_b64 v255, v[74:75], v[18:19] offset1:56
	s_waitcnt vmcnt(27)
	v_mul_f32_e32 v16, v29, v137
	v_mul_f32_e32 v17, v28, v137
	v_fma_f32 v15, v23, v146, -v15
	v_mul_f32_e32 v12, v25, v143
	s_waitcnt vmcnt(26)
	v_dual_mul_f32 v13, v24, v143 :: v_dual_mul_f32 v20, v31, v133
	v_mul_f32_e32 v21, v30, v133
	v_fmac_f32_e32 v14, v22, v146
	v_fmac_f32_e32 v16, v28, v136
	v_fma_f32 v17, v29, v136, -v17
	v_fmac_f32_e32 v20, v30, v132
	v_fma_f32 v21, v31, v132, -v21
	v_add_nc_u32_e32 v78, 0x2c00, v255
	v_fma_f32 v13, v25, v142, -v13
	v_mul_f32_e32 v18, v27, v125
	v_mul_f32_e32 v19, v26, v125
	ds_store_2addr_b64 v7, v[14:15], v[20:21] offset0:12 offset1:68
	s_clause 0x3
	scratch_store_b64 off, v[148:149], off offset:292
	scratch_store_b64 off, v[146:147], off offset:284
	;; [unrolled: 1-line block ×4, first 2 shown]
	v_fma_f32 v19, v27, v124, -v19
	s_waitcnt vmcnt(23)
	v_mul_f32_e32 v14, v37, v135
	s_clause 0x3
	scratch_store_b64 off, v[126:127], off offset:212
	scratch_store_b64 off, v[128:129], off offset:220
	;; [unrolled: 1-line block ×4, first 2 shown]
	v_fmac_f32_e32 v14, v36, v134
	s_clause 0x6
	scratch_store_b64 off, v[116:117], off offset:172
	scratch_store_b64 off, v[120:121], off offset:188
	;; [unrolled: 1-line block ×7, first 2 shown]
	s_waitcnt vmcnt(20)
	v_mul_f32_e32 v21, v42, v115
	ds_store_2addr_b64 v8, v[10:11], v[16:17] offset0:34 offset1:90
	v_mul_f32_e32 v10, v33, v127
	v_dual_mul_f32 v11, v32, v127 :: v_dual_mul_f32 v16, v35, v117
	v_dual_mul_f32 v17, v34, v117 :: v_dual_fmac_f32 v12, v24, v142
	s_delay_alu instid0(VALU_DEP_3) | instskip(NEXT) | instid1(VALU_DEP_3)
	v_fmac_f32_e32 v10, v32, v126
	v_fma_f32 v11, v33, v126, -v11
	s_delay_alu instid0(VALU_DEP_4) | instskip(NEXT) | instid1(VALU_DEP_4)
	v_fmac_f32_e32 v16, v34, v116
	v_fma_f32 v17, v35, v116, -v17
	s_waitcnt vmcnt(18)
	v_mul_f32_e32 v20, v47, v103
	scratch_store_b64 off, v[92:93], off offset:76 ; 8-byte Folded Spill
	ds_store_2addr_b64 v78, v[12:13], v[10:11] offset0:118 offset1:174
	v_dual_mul_f32 v11, v36, v135 :: v_dual_fmac_f32 v18, v26, v124
	v_mul_f32_e32 v13, v38, v129
	v_mul_f32_e32 v10, v39, v129
	;; [unrolled: 1-line block ×3, first 2 shown]
	s_delay_alu instid0(VALU_DEP_4)
	v_fma_f32 v15, v37, v134, -v11
	ds_store_2addr_b64 v255, v[18:19], v[16:17] offset0:112 offset1:168
	v_mul_f32_e32 v17, v40, v121
	v_mul_f32_e32 v16, v45, v113
	;; [unrolled: 1-line block ×3, first 2 shown]
	v_fma_f32 v11, v39, v128, -v13
	v_mul_f32_e32 v18, v43, v115
	v_fma_f32 v13, v41, v120, -v17
	v_fmac_f32_e32 v16, v44, v112
	v_fma_f32 v17, v45, v112, -v19
	v_fma_f32 v19, v43, v114, -v21
	v_mul_f32_e32 v21, v46, v103
	v_fmac_f32_e32 v10, v38, v128
	v_fmac_f32_e32 v18, v42, v114
	ds_store_2addr_b64 v8, v[14:15], v[16:17] offset0:146 offset1:202
	s_waitcnt vmcnt(16)
	v_mul_f32_e32 v16, v51, v111
	v_dual_mul_f32 v17, v50, v111 :: v_dual_mul_f32 v14, v49, v93
	v_dual_mul_f32 v15, v48, v93 :: v_dual_fmac_f32 v20, v46, v102
	v_fma_f32 v21, v47, v102, -v21
	s_delay_alu instid0(VALU_DEP_4) | instskip(NEXT) | instid1(VALU_DEP_4)
	v_fmac_f32_e32 v16, v50, v110
	v_fma_f32 v17, v51, v110, -v17
	v_fmac_f32_e32 v12, v40, v120
	v_fmac_f32_e32 v14, v48, v92
	v_fma_f32 v15, v49, v92, -v15
	s_waitcnt vmcnt(15)
	v_mul_f32_e32 v22, v53, v107
	ds_store_2addr_b64 v7, v[10:11], v[20:21] offset0:124 offset1:180
	ds_store_2addr_b64 v5, v[12:13], v[14:15] offset0:102 offset1:158
	v_mul_f32_e32 v11, v52, v107
	ds_store_2addr_b64 v9, v[18:19], v[16:17] offset0:96 offset1:152
	s_waitcnt vmcnt(11)
	v_mul_f32_e32 v16, v61, v87
	v_dual_mul_f32 v15, v60, v87 :: v_dual_mul_f32 v10, v55, v101
	v_mul_f32_e32 v13, v54, v101
	s_waitcnt vmcnt(10)
	v_mul_f32_e32 v18, v63, v85
	v_mul_f32_e32 v19, v62, v85
	v_dual_mov_b32 v83, s2 :: v_dual_add_nc_u32 v4, 0x1800, v255
	v_fmac_f32_e32 v22, v52, v106
	v_fma_f32 v23, v53, v106, -v11
	v_fmac_f32_e32 v16, v60, v86
	v_fma_f32 v17, v61, v86, -v15
	v_mul_f32_e32 v14, v56, v91
	v_fmac_f32_e32 v10, v54, v100
	v_fma_f32 v11, v55, v100, -v13
	v_fmac_f32_e32 v18, v62, v84
	v_fma_f32 v19, v63, v84, -v19
	v_mul_f32_e32 v20, v58, v89
	v_mul_f32_e32 v12, v57, v91
	ds_store_2addr_b64 v4, v[22:23], v[16:17] offset0:2 offset1:58
	s_waitcnt vmcnt(8)
	v_mul_f32_e32 v16, v65, v95
	v_mul_f32_e32 v17, v64, v95
	v_fma_f32 v13, v57, v90, -v14
	v_mul_f32_e32 v14, v59, v89
	ds_store_2addr_b64 v79, v[10:11], v[18:19] offset0:108 offset1:164
	s_waitcnt vmcnt(6)
	v_mul_f32_e32 v10, v67, v109
	v_mul_f32_e32 v11, v66, v109
	s_waitcnt vmcnt(4)
	v_mul_f32_e32 v18, v69, v97
	v_mul_f32_e32 v19, v68, v97
	v_fma_f32 v15, v59, v88, -v20
	s_waitcnt vmcnt(2)
	v_mul_f32_e32 v20, v71, v105
	s_waitcnt vmcnt(0)
	v_dual_mul_f32 v21, v70, v105 :: v_dual_mul_f32 v22, v73, v99
	v_mul_f32_e32 v23, v72, v99
	v_cmp_gt_u64_e32 vcc_lo, 0x1ea, v[82:83]
	v_fmac_f32_e32 v12, v56, v90
	v_fmac_f32_e32 v16, v64, v94
	v_fma_f32 v17, v65, v94, -v17
	v_mov_b32_e32 v24, v82
	v_fmac_f32_e32 v14, v58, v88
	v_fmac_f32_e32 v10, v66, v108
	v_fma_f32 v11, v67, v108, -v11
	v_fmac_f32_e32 v18, v68, v96
	v_fma_f32 v19, v69, v96, -v19
	;; [unrolled: 2-line block ×4, first 2 shown]
	s_clause 0xb
	scratch_store_b64 off, v[100:101], off offset:108
	scratch_store_b64 off, v[104:105], off offset:124
	;; [unrolled: 1-line block ×11, first 2 shown]
	scratch_store_b64 off, v[24:25], off
	ds_store_2addr_b64 v80, v[12:13], v[16:17] offset0:86 offset1:142
	ds_store_2addr_b64 v6, v[14:15], v[10:11] offset0:80 offset1:136
	ds_store_b64 v255, v[18:19] offset:7056
	ds_store_b64 v255, v[20:21] offset:10976
	;; [unrolled: 1-line block ×3, first 2 shown]
	s_and_saveexec_b32 s3, vcc_lo
	s_cbranch_execz .LBB0_3
; %bb.2:
	scratch_load_b64 v[10:11], off, off     ; 8-byte Folded Reload
	v_mad_u64_u32 v[12:13], null, 0xffffe320, s8, v[0:1]
	s_mul_i32 s2, s9, 0xffffe320
	s_delay_alu instid0(SALU_CYCLE_1) | instskip(SKIP_1) | instid1(VALU_DEP_1)
	s_sub_i32 s2, s2, s8
	s_waitcnt vmcnt(0)
	v_dual_mov_b32 v14, v10 :: v_dual_add_nc_u32 v13, s2, v13
	s_delay_alu instid0(VALU_DEP_1) | instskip(NEXT) | instid1(VALU_DEP_1)
	v_mad_u64_u32 v[10:11], null, s8, v14, 0
	v_mad_u64_u32 v[0:1], null, s9, v14, v[11:12]
	scratch_load_b64 v[14:15], off, off offset:36 ; 8-byte Folded Reload
	s_waitcnt vmcnt(0)
	global_load_b64 v[14:15], v[14:15], off offset:3408
	scratch_load_b64 v[16:17], off, off offset:28 ; 8-byte Folded Reload
	v_mov_b32_e32 v11, v0
	v_add_co_u32 v0, s2, v12, s14
	s_delay_alu instid0(VALU_DEP_1)
	v_add_co_ci_u32_e64 v1, s2, s15, v13, s2
	s_waitcnt vmcnt(0)
	global_load_b64 v[16:17], v[16:17], off offset:3232
	global_load_b64 v[12:13], v[12:13], off
	global_load_b64 v[18:19], v[0:1], off
	s_waitcnt vmcnt(1)
	v_mul_f32_e32 v22, v13, v15
	v_lshlrev_b64 v[10:11], 3, v[10:11]
	v_mul_f32_e32 v15, v12, v15
	s_delay_alu instid0(VALU_DEP_3) | instskip(SKIP_2) | instid1(VALU_DEP_4)
	v_fmac_f32_e32 v22, v12, v14
	s_waitcnt vmcnt(0)
	v_mul_f32_e32 v12, v19, v17
	v_add_co_u32 v2, s2, v2, v10
	s_delay_alu instid0(VALU_DEP_1) | instskip(SKIP_2) | instid1(VALU_DEP_1)
	v_add_co_ci_u32_e64 v3, s2, v3, v11, s2
	scratch_load_b64 v[10:11], off, off offset:12 ; 8-byte Folded Reload
	v_add_co_u32 v0, s2, v0, s14
	v_add_co_ci_u32_e64 v1, s2, s15, v1, s2
	v_fma_f32 v23, v13, v14, -v15
	v_mul_f32_e32 v13, v18, v17
	v_fmac_f32_e32 v12, v18, v16
	s_waitcnt vmcnt(0)
	global_load_b64 v[10:11], v[10:11], off offset:3584
	global_load_b64 v[2:3], v[2:3], off
	scratch_load_b64 v[20:21], off, off offset:20 ; 8-byte Folded Reload
	v_fma_f32 v13, v19, v16, -v13
	s_waitcnt vmcnt(0)
	global_load_b64 v[20:21], v[20:21], off offset:3056
	global_load_b64 v[0:1], v[0:1], off
	v_mul_f32_e32 v14, v3, v11
	s_waitcnt vmcnt(0)
	v_dual_mul_f32 v11, v2, v11 :: v_dual_mul_f32 v18, v0, v21
	s_delay_alu instid0(VALU_DEP_2) | instskip(NEXT) | instid1(VALU_DEP_2)
	v_dual_mul_f32 v17, v1, v21 :: v_dual_fmac_f32 v14, v2, v10
	v_fma_f32 v15, v3, v10, -v11
	s_delay_alu instid0(VALU_DEP_3) | instskip(NEXT) | instid1(VALU_DEP_3)
	v_fma_f32 v18, v1, v20, -v18
	v_fmac_f32_e32 v17, v0, v20
	ds_store_b64 v255, v[14:15] offset:3584
	ds_store_b64 v255, v[22:23] offset:7504
	;; [unrolled: 1-line block ×4, first 2 shown]
.LBB0_3:
	s_or_b32 exec_lo, exec_lo, s3
	v_add_nc_u32_e32 v0, 0xc00, v255
	v_add_nc_u32_e32 v1, 0x1c00, v255
	;; [unrolled: 1-line block ×3, first 2 shown]
	s_waitcnt lgkmcnt(0)
	s_waitcnt_vscnt null, 0x0
	s_barrier
	buffer_gl0_inv
	ds_load_2addr_b64 v[52:55], v255 offset1:56
	ds_load_2addr_b64 v[48:51], v0 offset0:106 offset1:162
	ds_load_2addr_b64 v[60:63], v1 offset0:84 offset1:140
	;; [unrolled: 1-line block ×4, first 2 shown]
	v_add_nc_u32_e32 v0, 0x1400, v255
	ds_load_2addr_b64 v[36:39], v8 offset0:90 offset1:146
	ds_load_2addr_b64 v[44:47], v7 offset0:68 offset1:124
	;; [unrolled: 1-line block ×6, first 2 shown]
	v_add_nc_u32_e32 v8, 0x3800, v255
	ds_load_2addr_b64 v[28:31], v5 offset0:158 offset1:214
	ds_load_2addr_b64 v[0:3], v6 offset0:80 offset1:136
	;; [unrolled: 1-line block ×5, first 2 shown]
	s_load_b64 s[2:3], s[0:1], 0x8
                                        ; implicit-def: $vgpr68
                                        ; implicit-def: $vgpr70
                                        ; implicit-def: $vgpr66
                                        ; implicit-def: $vgpr64
	s_and_saveexec_b32 s0, vcc_lo
	s_cbranch_execz .LBB0_5
; %bb.4:
	ds_load_b64 v[64:65], v255 offset:3584
	ds_load_b64 v[66:67], v255 offset:7504
	;; [unrolled: 1-line block ×4, first 2 shown]
.LBB0_5:
	s_or_b32 exec_lo, exec_lo, s0
	s_waitcnt lgkmcnt(0)
	v_dual_sub_f32 v60, v52, v60 :: v_dual_sub_f32 v61, v53, v61
	v_dual_sub_f32 v56, v48, v56 :: v_dual_sub_f32 v57, v49, v57
	v_add_co_u32 v90, s0, v131, 56
	s_delay_alu instid0(VALU_DEP_1) | instskip(SKIP_1) | instid1(VALU_DEP_1)
	v_add_co_ci_u32_e64 v72, null, 0, 0, s0
	v_add_co_u32 v85, s0, 0x118, v131
	v_add_co_ci_u32_e64 v72, null, 0, 0, s0
	v_add_co_u32 v86, s0, 0x150, v131
	v_fma_f32 v52, v52, 2.0, -v60
	v_fma_f32 v48, v48, 2.0, -v56
	v_add_co_ci_u32_e64 v72, null, 0, 0, s0
	v_add_co_u32 v87, s0, 0x188, v131
	s_delay_alu instid0(VALU_DEP_1)
	v_add_co_ci_u32_e64 v72, null, 0, 0, s0
	v_fma_f32 v53, v53, 2.0, -v61
	v_fma_f32 v49, v49, 2.0, -v57
	v_dual_sub_f32 v48, v52, v48 :: v_dual_sub_f32 v63, v55, v63
	v_sub_f32_e32 v62, v54, v62
	v_sub_f32_e32 v72, v50, v58
	v_dual_sub_f32 v58, v51, v59 :: v_dual_sub_f32 v45, v33, v45
	v_sub_f32_e32 v49, v53, v49
	s_delay_alu instid0(VALU_DEP_4) | instskip(SKIP_1) | instid1(VALU_DEP_4)
	v_fma_f32 v59, v54, 2.0, -v62
	v_fma_f32 v73, v55, 2.0, -v63
	;; [unrolled: 1-line block ×3, first 2 shown]
	v_add_f32_e32 v51, v61, v56
	v_fma_f32 v54, v50, 2.0, -v72
	v_sub_f32_e32 v50, v60, v57
	v_sub_f32_e32 v41, v37, v41
	;; [unrolled: 1-line block ×3, first 2 shown]
	v_fma_f32 v55, v61, 2.0, -v51
	v_sub_f32_e32 v56, v59, v54
	v_dual_sub_f32 v44, v32, v44 :: v_dual_sub_f32 v47, v35, v47
	s_delay_alu instid0(VALU_DEP_4)
	v_fma_f32 v61, v73, 2.0, -v57
	v_fma_f32 v73, v33, 2.0, -v45
	;; [unrolled: 1-line block ×3, first 2 shown]
	v_sub_f32_e32 v40, v36, v40
	v_sub_f32_e32 v74, v38, v42
	v_add_co_u32 v84, null, 0x70, v131
	s_delay_alu instid0(VALU_DEP_4)
	v_dual_sub_f32 v33, v73, v33 :: v_dual_sub_f32 v46, v34, v46
	v_fma_f32 v54, v60, 2.0, -v50
	v_fma_f32 v60, v59, 2.0, -v56
	v_dual_sub_f32 v58, v62, v58 :: v_dual_add_f32 v59, v63, v72
	v_fma_f32 v72, v32, 2.0, -v44
	v_fma_f32 v32, v36, 2.0, -v40
	v_sub_f32_e32 v42, v39, v43
	v_fma_f32 v75, v35, 2.0, -v47
	v_fma_f32 v37, v38, 2.0, -v74
	v_add_f32_e32 v35, v45, v40
	v_fma_f32 v43, v34, 2.0, -v46
	v_sub_f32_e32 v34, v44, v41
	v_dual_sub_f32 v8, v4, v8 :: v_dual_sub_f32 v79, v3, v15
	v_dual_sub_f32 v10, v6, v10 :: v_dual_lshlrev_b32 v191, 5, v84
	s_delay_alu instid0(VALU_DEP_4)
	v_sub_f32_e32 v40, v43, v37
	v_fma_f32 v37, v73, 2.0, -v33
	v_sub_f32_e32 v73, v22, v26
	v_fma_f32 v38, v39, 2.0, -v42
	v_sub_f32_e32 v32, v72, v32
	v_sub_f32_e32 v76, v1, v13
	;; [unrolled: 1-line block ×3, first 2 shown]
	v_fma_f32 v39, v45, 2.0, -v35
	v_sub_f32_e32 v41, v75, v38
	v_fma_f32 v36, v72, 2.0, -v32
	v_add_f32_e32 v15, v76, v8
	v_fma_f32 v38, v44, 2.0, -v34
	v_fma_f32 v44, v43, 2.0, -v40
	v_sub_f32_e32 v72, v20, v24
	v_sub_f32_e32 v24, v16, v28
	;; [unrolled: 1-line block ×4, first 2 shown]
	v_add_f32_e32 v43, v47, v74
	v_fma_f32 v1, v1, 2.0, -v76
	v_sub_f32_e32 v74, v23, v27
	v_fma_f32 v45, v75, 2.0, -v41
	v_fma_f32 v17, v17, 2.0, -v25
	v_sub_f32_e32 v27, v18, v30
	v_sub_f32_e32 v75, v0, v12
	v_fma_f32 v21, v21, 2.0, -v28
	v_fma_f32 v30, v23, 2.0, -v74
	;; [unrolled: 1-line block ×5, first 2 shown]
	v_sub_f32_e32 v17, v21, v17
	v_fma_f32 v20, v20, 2.0, -v72
	v_dual_sub_f32 v18, v72, v25 :: v_dual_sub_f32 v25, v30, v23
	v_fma_f32 v16, v16, 2.0, -v24
	v_fma_f32 v0, v0, 2.0, -v75
	;; [unrolled: 1-line block ×3, first 2 shown]
	v_dual_sub_f32 v9, v5, v9 :: v_dual_sub_f32 v78, v2, v14
	s_delay_alu instid0(VALU_DEP_4) | instskip(NEXT) | instid1(VALU_DEP_3)
	v_dual_sub_f32 v16, v20, v16 :: v_dual_lshlrev_b32 v193, 5, v131
	v_sub_f32_e32 v12, v0, v4
	v_add_co_u32 v88, null, 0xe0, v131
	s_delay_alu instid0(VALU_DEP_4) | instskip(SKIP_1) | instid1(VALU_DEP_4)
	v_fma_f32 v5, v5, 2.0, -v9
	v_dual_sub_f32 v42, v46, v42 :: v_dual_add_f32 v19, v28, v24
	v_fma_f32 v4, v0, 2.0, -v12
	v_fma_f32 v0, v2, 2.0, -v78
	v_dual_sub_f32 v2, v7, v11 :: v_dual_lshlrev_b32 v189, 5, v88
	v_sub_f32_e32 v26, v73, v26
	v_sub_f32_e32 v13, v1, v5
	v_add_f32_e32 v27, v74, v27
	v_fma_f32 v8, v3, 2.0, -v79
	v_fma_f32 v3, v7, 2.0, -v2
	v_sub_f32_e32 v24, v29, v22
	v_add_co_u32 v89, null, 0xa8, v131
	v_fma_f32 v52, v52, 2.0, -v48
	v_fma_f32 v53, v53, 2.0, -v49
	;; [unrolled: 1-line block ×11, first 2 shown]
	v_sub_f32_e32 v73, v8, v3
	v_fma_f32 v31, v74, 2.0, -v27
	v_lshlrev_b32_e32 v192, 5, v90
	v_lshlrev_b32_e32 v186, 5, v85
	v_dual_sub_f32 v14, v75, v9 :: v_dual_lshlrev_b32 v187, 5, v86
	v_fma_f32 v46, v46, 2.0, -v42
	v_fma_f32 v47, v47, 2.0, -v43
	v_lshlrev_b32_e32 v190, 5, v89
	v_sub_f32_e32 v3, v67, v69
	s_barrier
	buffer_gl0_inv
	ds_store_b128 v193, v[52:55]
	ds_store_b128 v193, v[48:51] offset:16
	ds_store_b128 v192, v[60:63]
	ds_store_b128 v192, v[56:59] offset:16
	;; [unrolled: 2-line block ×6, first 2 shown]
	v_fma_f32 v5, v6, 2.0, -v10
	v_fma_f32 v6, v75, 2.0, -v14
	v_add_f32_e32 v75, v79, v10
	scratch_load_b64 v[10:11], off, off     ; 8-byte Folded Reload
	v_fma_f32 v7, v76, 2.0, -v15
	v_sub_f32_e32 v72, v0, v5
	v_fma_f32 v5, v1, 2.0, -v13
	v_dual_sub_f32 v74, v78, v2 :: v_dual_sub_f32 v1, v65, v71
	v_sub_f32_e32 v2, v66, v68
	v_fma_f32 v77, v8, 2.0, -v73
	v_lshlrev_b32_e32 v188, 5, v87
	s_delay_alu instid0(VALU_DEP_4)
	v_fma_f32 v78, v78, 2.0, -v74
	v_fma_f32 v79, v79, 2.0, -v75
	v_add_f32_e32 v9, v2, v1
	s_waitcnt vmcnt(0)
	v_lshlrev_b32_e32 v185, 5, v10
	v_fma_f32 v76, v0, 2.0, -v72
	v_sub_f32_e32 v0, v64, v70
	ds_store_b128 v187, v[4:7]
	ds_store_b128 v187, v[12:15] offset:16
	ds_store_b128 v188, v[76:79]
	ds_store_b128 v188, v[72:75] offset:16
	v_sub_f32_e32 v8, v0, v3
	s_and_saveexec_b32 s0, vcc_lo
	s_cbranch_execz .LBB0_7
; %bb.6:
	v_fma_f32 v4, v65, 2.0, -v1
	v_fma_f32 v3, v67, 2.0, -v3
	v_fma_f32 v5, v64, 2.0, -v0
	v_fma_f32 v2, v66, 2.0, -v2
	s_delay_alu instid0(VALU_DEP_3) | instskip(SKIP_1) | instid1(VALU_DEP_3)
	v_sub_f32_e32 v7, v4, v3
	v_fma_f32 v3, v1, 2.0, -v9
	v_sub_f32_e32 v6, v5, v2
	v_fma_f32 v2, v0, 2.0, -v8
	s_delay_alu instid0(VALU_DEP_4) | instskip(NEXT) | instid1(VALU_DEP_3)
	v_fma_f32 v1, v4, 2.0, -v7
	v_fma_f32 v0, v5, 2.0, -v6
	ds_store_b128 v185, v[0:3]
	ds_store_b128 v185, v[6:9] offset:16
.LBB0_7:
	s_or_b32 exec_lo, exec_lo, s0
	v_and_b32_e32 v34, 3, v131
	s_waitcnt lgkmcnt(0)
	s_barrier
	buffer_gl0_inv
	v_mul_u32_u24_e32 v0, 6, v34
	s_delay_alu instid0(VALU_DEP_1)
	v_lshlrev_b32_e32 v10, 3, v0
	s_clause 0x2
	global_load_b128 v[0:3], v10, s[2:3]
	global_load_b128 v[4:7], v10, s[2:3] offset:16
	global_load_b128 v[12:15], v10, s[2:3] offset:32
	v_add_nc_u32_e32 v31, 0x400, v255
	v_add_nc_u32_e32 v36, 0x1800, v255
	;; [unrolled: 1-line block ×3, first 2 shown]
	ds_load_2addr_b64 v[24:27], v255 offset1:56
	ds_load_2addr_b64 v[16:19], v31 offset0:96 offset1:152
	ds_load_2addr_b64 v[20:23], v255 offset0:112 offset1:168
	ds_load_2addr_b64 v[45:48], v32 offset0:48 offset1:104
	ds_load_2addr_b64 v[49:52], v36 offset0:16 offset1:72
	v_add_nc_u32_e32 v33, 0x2000, v255
	v_add_nc_u32_e32 v28, 0x2800, v255
	;; [unrolled: 1-line block ×6, first 2 shown]
	ds_load_2addr_b64 v[53:56], v33 offset0:96 offset1:152
	s_waitcnt vmcnt(2) lgkmcnt(4)
	v_dual_mul_f32 v67, v19, v1 :: v_dual_add_nc_u32 v10, 0x1c00, v255
	s_waitcnt vmcnt(1) lgkmcnt(1)
	v_mul_f32_e32 v115, v52, v5
	ds_load_2addr_b64 v[57:60], v28 offset0:64 offset1:120
	ds_load_b64 v[65:66], v255 offset:15232
	ds_load_2addr_b64 v[61:64], v37 offset0:144 offset1:200
	ds_load_2addr_b64 v[69:72], v29 offset0:80 offset1:136
	;; [unrolled: 1-line block ×6, first 2 shown]
	ds_load_2addr_b64 v[99:102], v68 offset1:56
	ds_load_2addr_b64 v[103:106], v29 offset0:192 offset1:248
	ds_load_2addr_b64 v[107:110], v10 offset0:112 offset1:168
	;; [unrolled: 1-line block ×3, first 2 shown]
	scratch_store_b32 off, v131, off offset:8 ; 4-byte Folded Spill
	scratch_load_b32 v184, off, off offset:8 ; 4-byte Folded Reload
	v_mul_f32_e32 v81, v18, v1
	v_mul_f32_e32 v82, v46, v3
	v_dual_mul_f32 v83, v45, v3 :: v_dual_mul_f32 v116, v51, v5
	s_waitcnt lgkmcnt(12)
	v_mul_f32_e32 v117, v54, v7
	s_waitcnt vmcnt(1) lgkmcnt(11)
	v_dual_mul_f32 v118, v53, v7 :: v_dual_mul_f32 v119, v60, v13
	s_waitcnt lgkmcnt(9)
	v_dual_mul_f32 v120, v59, v13 :: v_dual_mul_f32 v121, v62, v15
	s_waitcnt lgkmcnt(8)
	v_dual_mul_f32 v122, v61, v15 :: v_dual_mul_f32 v123, v70, v1
	v_dual_mul_f32 v124, v69, v1 :: v_dual_mul_f32 v125, v48, v3
	s_waitcnt lgkmcnt(6)
	v_mul_f32_e32 v144, v79, v13
	v_mul_f32_e32 v126, v47, v3
	;; [unrolled: 1-line block ×3, first 2 shown]
	s_waitcnt lgkmcnt(1)
	v_mul_f32_e32 v149, v108, v5
	s_waitcnt lgkmcnt(0)
	v_dual_mul_f32 v129, v56, v7 :: v_dual_mul_f32 v152, v111, v13
	v_dual_mul_f32 v130, v55, v7 :: v_dual_mul_f32 v151, v112, v13
	v_mul_f32_e32 v131, v78, v13
	v_dual_mul_f32 v132, v77, v13 :: v_dual_mul_f32 v133, v64, v15
	v_mul_f32_e32 v10, v105, v1
	;; [unrolled: 2-line block ×3, first 2 shown]
	v_mul_f32_e32 v136, v71, v1
	v_mul_f32_e32 v139, v76, v5
	;; [unrolled: 1-line block ×4, first 2 shown]
	v_dual_mul_f32 v137, v92, v3 :: v_dual_fmac_f32 v118, v54, v6
	v_dual_mul_f32 v145, v100, v15 :: v_dual_fmac_f32 v124, v70, v0
	v_dual_mul_f32 v146, v99, v15 :: v_dual_mul_f32 v159, v114, v13
	v_mul_f32_e32 v147, v104, v1
	v_dual_mul_f32 v141, v96, v7 :: v_dual_fmac_f32 v122, v62, v14
	v_dual_mul_f32 v41, v103, v1 :: v_dual_mul_f32 v148, v94, v3
	v_dual_mul_f32 v42, v93, v3 :: v_dual_mul_f32 v43, v107, v5
	;; [unrolled: 1-line block ×3, first 2 shown]
	v_dual_mul_f32 v44, v97, v7 :: v_dual_fmac_f32 v81, v19, v0
	v_dual_mul_f32 v153, v102, v15 :: v_dual_fmac_f32 v116, v52, v4
	;; [unrolled: 1-line block ×6, first 2 shown]
	v_mul_f32_e32 v160, v66, v15
	v_fma_f32 v18, v18, v0, -v67
	v_fma_f32 v19, v45, v2, -v82
	v_fma_f32 v45, v51, v4, -v115
	v_fma_f32 v46, v53, v6, -v117
	v_fma_f32 v51, v59, v12, -v119
	v_fma_f32 v52, v61, v14, -v121
	v_dual_mul_f32 v127, v74, v5 :: v_dual_mul_f32 v138, v91, v3
	v_dual_mul_f32 v157, v110, v5 :: v_dual_mul_f32 v142, v95, v7
	v_mul_f32_e32 v35, v109, v5
	v_dual_mul_f32 v38, v57, v7 :: v_dual_fmac_f32 v11, v50, v2
	v_mul_f32_e32 v40, v65, v15
	v_fma_f32 v53, v69, v0, -v123
	s_delay_alu instid0(VALU_DEP_4)
	v_fmac_f32_e32 v35, v110, v4
	v_fma_f32 v47, v47, v2, -v125
	v_dual_fmac_f32 v126, v48, v2 :: v_dual_fmac_f32 v39, v114, v12
	v_fmac_f32_e32 v128, v74, v4
	v_fma_f32 v54, v55, v6, -v129
	v_fmac_f32_e32 v130, v56, v6
	v_fma_f32 v55, v77, v12, -v131
	;; [unrolled: 2-line block ×5, first 2 shown]
	v_fma_f32 v61, v75, v4, -v139
	v_fma_f32 v62, v95, v6, -v141
	;; [unrolled: 1-line block ×4, first 2 shown]
	v_fmac_f32_e32 v146, v100, v14
	v_fmac_f32_e32 v44, v98, v6
	s_delay_alu instid0(VALU_DEP_4)
	v_dual_fmac_f32 v154, v102, v14 :: v_dual_add_f32 v77, v60, v63
	v_fma_f32 v98, v49, v2, -v156
	v_fma_f32 v100, v57, v6, -v158
	v_add_f32_e32 v49, v18, v52
	v_add_f32_e32 v57, v19, v51
	v_sub_f32_e32 v19, v19, v51
	v_sub_f32_e32 v51, v83, v120
	v_fma_f32 v102, v65, v14, -v160
	v_add_f32_e32 v65, v45, v46
	v_fma_f32 v48, v73, v4, -v127
	v_dual_fmac_f32 v138, v92, v2 :: v_dual_add_f32 v69, v53, v56
	v_dual_fmac_f32 v140, v76, v4 :: v_dual_add_f32 v71, v47, v55
	v_dual_fmac_f32 v142, v96, v6 :: v_dual_sub_f32 v53, v53, v56
	v_dual_fmac_f32 v144, v80, v12 :: v_dual_sub_f32 v47, v47, v55
	v_dual_fmac_f32 v42, v94, v2 :: v_dual_add_f32 v75, v59, v64
	v_dual_fmac_f32 v152, v112, v12 :: v_dual_add_f32 v79, v61, v62
	v_fmac_f32_e32 v38, v58, v6
	v_dual_fmac_f32 v40, v66, v14 :: v_dual_sub_f32 v95, v57, v49
	v_add_f32_e32 v50, v81, v122
	v_sub_f32_e32 v18, v18, v52
	v_dual_sub_f32 v52, v81, v122 :: v_dual_sub_f32 v61, v62, v61
	v_dual_add_f32 v58, v83, v120 :: v_dual_sub_f32 v45, v46, v45
	v_add_f32_e32 v66, v116, v118
	v_dual_sub_f32 v46, v118, v116 :: v_dual_add_f32 v81, v57, v49
	v_dual_sub_f32 v57, v65, v57 :: v_dual_sub_f32 v60, v60, v63
	v_fma_f32 v67, v103, v0, -v147
	v_fma_f32 v91, v107, v4, -v149
	;; [unrolled: 1-line block ×4, first 2 shown]
	v_dual_fmac_f32 v10, v106, v0 :: v_dual_add_f32 v73, v48, v54
	v_fma_f32 v99, v109, v4, -v157
	v_dual_sub_f32 v56, v124, v134 :: v_dual_sub_f32 v55, v126, v132
	v_add_f32_e32 v74, v128, v130
	v_dual_sub_f32 v48, v54, v48 :: v_dual_sub_f32 v109, v71, v69
	v_sub_f32_e32 v54, v130, v128
	v_dual_add_f32 v76, v136, v146 :: v_dual_sub_f32 v59, v59, v64
	v_sub_f32_e32 v64, v136, v146
	v_add_f32_e32 v78, v138, v144
	v_sub_f32_e32 v63, v138, v144
	v_sub_f32_e32 v62, v142, v140
	v_add_f32_e32 v83, v58, v50
	v_dual_sub_f32 v96, v58, v50 :: v_dual_add_f32 v115, v77, v75
	v_dual_sub_f32 v49, v49, v65 :: v_dual_add_f32 v70, v124, v134
	v_dual_add_f32 v72, v126, v132 :: v_dual_sub_f32 v107, v19, v18
	v_dual_add_f32 v103, v45, v19 :: v_dual_sub_f32 v50, v50, v66
	v_dual_sub_f32 v117, v77, v75 :: v_dual_sub_f32 v58, v66, v58
	v_sub_f32_e32 v75, v75, v79
	v_sub_f32_e32 v105, v45, v19
	v_dual_add_f32 v104, v46, v51 :: v_dual_sub_f32 v77, v79, v77
	v_dual_sub_f32 v106, v46, v51 :: v_dual_add_f32 v119, v61, v60
	v_dual_sub_f32 v46, v52, v46 :: v_dual_sub_f32 v121, v61, v60
	v_sub_f32_e32 v51, v51, v52
	v_add_f32_e32 v19, v71, v69
	v_fma_f32 v82, v93, v2, -v148
	v_fma_f32 v93, v111, v12, -v151
	;; [unrolled: 1-line block ×4, first 2 shown]
	v_dual_add_f32 v80, v140, v142 :: v_dual_sub_f32 v45, v18, v45
	v_dual_add_f32 v108, v72, v70 :: v_dual_sub_f32 v61, v59, v61
	v_sub_f32_e32 v69, v69, v73
	v_sub_f32_e32 v71, v73, v71
	v_add_f32_e32 v111, v48, v47
	v_dual_add_f32 v112, v54, v55 :: v_dual_mul_f32 v49, 0x3f4a47b2, v49
	v_sub_f32_e32 v113, v48, v47
	v_sub_f32_e32 v114, v54, v55
	;; [unrolled: 1-line block ×3, first 2 shown]
	v_dual_sub_f32 v54, v56, v54 :: v_dual_mul_f32 v123, 0x3f5ff5aa, v51
	v_dual_sub_f32 v47, v47, v53 :: v_dual_sub_f32 v110, v72, v70
	v_dual_sub_f32 v70, v70, v74 :: v_dual_add_f32 v65, v65, v81
	v_dual_sub_f32 v72, v74, v72 :: v_dual_add_f32 v81, v103, v18
	v_add_f32_e32 v116, v78, v76
	v_dual_sub_f32 v118, v78, v76 :: v_dual_add_f32 v73, v73, v19
	v_add_f32_e32 v120, v62, v63
	v_sub_f32_e32 v60, v60, v59
	v_add_f32_e32 v66, v66, v83
	v_add_f32_e32 v52, v104, v52
	v_mul_f32_e32 v50, 0x3f4a47b2, v50
	v_dual_mul_f32 v83, 0x3d64c772, v57 :: v_dual_sub_f32 v122, v62, v63
	v_dual_sub_f32 v62, v64, v62 :: v_dual_add_f32 v79, v79, v115
	v_mul_f32_e32 v103, 0x3d64c772, v58
	v_add_f32_e32 v115, v119, v59
	v_mul_f32_e32 v59, 0x3f4a47b2, v75
	v_mul_f32_e32 v75, 0x3d64c772, v77
	;; [unrolled: 1-line block ×3, first 2 shown]
	v_dual_mul_f32 v104, 0xbf08b237, v105 :: v_dual_add_f32 v19, v25, v66
	v_mul_f32_e32 v105, 0xbf08b237, v106
	v_dual_mul_f32 v106, 0x3f5ff5aa, v107 :: v_dual_mul_f32 v121, 0x3f5ff5aa, v60
	v_dual_sub_f32 v55, v55, v56 :: v_dual_sub_f32 v78, v80, v78
	v_dual_mul_f32 v69, 0x3f4a47b2, v69 :: v_dual_add_f32 v74, v74, v108
	v_dual_fmamk_f32 v57, v57, 0x3d64c772, v49 :: v_dual_add_f32 v56, v112, v56
	v_mul_f32_e32 v112, 0xbf08b237, v113
	v_add_f32_e32 v18, v24, v65
	v_fmamk_f32 v58, v58, 0x3d64c772, v50
	v_fma_f32 v83, 0x3f3bfb3b, v95, -v83
	v_fma_f32 v103, 0x3f3bfb3b, v96, -v103
	;; [unrolled: 1-line block ×4, first 2 shown]
	v_dual_fmamk_f32 v95, v45, 0x3eae86e6, v104 :: v_dual_fmamk_f32 v96, v46, 0x3eae86e6, v105
	v_fma_f32 v104, 0x3f5ff5aa, v107, -v104
	v_fma_f32 v51, 0x3f5ff5aa, v51, -v105
	;; [unrolled: 1-line block ×4, first 2 shown]
	v_add_f32_e32 v24, v26, v73
	v_dual_sub_f32 v76, v76, v80 :: v_dual_add_f32 v53, v111, v53
	v_dual_mul_f32 v108, 0x3d64c772, v71 :: v_dual_add_f32 v25, v27, v74
	v_dual_mul_f32 v113, 0xbf08b237, v114 :: v_dual_add_f32 v80, v80, v116
	v_fmamk_f32 v26, v71, 0x3d64c772, v69
	v_fmamk_f32 v71, v48, 0x3eae86e6, v112
	v_fma_f32 v107, 0x3f5ff5aa, v47, -v112
	v_dual_fmac_f32 v96, 0x3ee1c552, v52 :: v_dual_fmac_f32 v105, 0x3ee1c552, v81
	v_dual_fmac_f32 v104, 0x3ee1c552, v81 :: v_dual_fmac_f32 v51, 0x3ee1c552, v52
	s_delay_alu instid0(VALU_DEP_4)
	v_dual_fmac_f32 v106, 0x3ee1c552, v52 :: v_dual_fmac_f32 v71, 0x3ee1c552, v53
	v_fmamk_f32 v52, v73, 0xbf955555, v24
	v_mul_f32_e32 v114, 0x3f5ff5aa, v47
	v_fmamk_f32 v47, v77, 0x3d64c772, v59
	v_dual_mul_f32 v70, 0x3f4a47b2, v70 :: v_dual_add_f32 v21, v21, v80
	v_sub_f32_e32 v63, v63, v64
	v_mul_f32_e32 v111, 0x3d64c772, v72
	v_add_f32_e32 v116, v120, v64
	s_delay_alu instid0(VALU_DEP_4)
	v_fmamk_f32 v27, v72, 0x3d64c772, v70
	v_fma_f32 v45, 0x3f3bfb3b, v109, -v108
	v_mul_f32_e32 v124, 0x3f5ff5aa, v55
	v_fma_f32 v69, 0xbf3bfb3b, v109, -v69
	v_fma_f32 v108, 0x3f5ff5aa, v55, -v113
	v_dual_add_f32 v20, v20, v79 :: v_dual_fmac_f32 v95, 0x3ee1c552, v81
	v_fmamk_f32 v72, v54, 0x3eae86e6, v113
	v_fmamk_f32 v55, v65, 0xbf955555, v18
	v_mul_f32_e32 v64, 0x3f4a47b2, v76
	v_dual_mul_f32 v76, 0x3d64c772, v78 :: v_dual_add_f32 v65, v26, v52
	v_fma_f32 v109, 0xbeae86e6, v48, -v114
	v_mul_f32_e32 v120, 0xbf08b237, v122
	v_fma_f32 v46, 0x3f3bfb3b, v110, -v111
	v_fma_f32 v70, 0xbf3bfb3b, v110, -v70
	v_fmamk_f32 v111, v61, 0x3eae86e6, v119
	v_fma_f32 v114, 0xbeae86e6, v61, -v121
	v_dual_fmac_f32 v72, 0x3ee1c552, v56 :: v_dual_fmac_f32 v107, 0x3ee1c552, v53
	v_dual_fmac_f32 v108, 0x3ee1c552, v56 :: v_dual_fmac_f32 v109, 0x3ee1c552, v53
	v_fmamk_f32 v73, v79, 0xbf955555, v20
	v_add_f32_e32 v53, v57, v55
	v_dual_add_f32 v57, v83, v55 :: v_dual_fmamk_f32 v48, v78, 0x3d64c772, v64
	v_fma_f32 v78, 0x3f5ff5aa, v60, -v119
	v_dual_fmamk_f32 v60, v74, 0xbf955555, v25 :: v_dual_add_f32 v55, v49, v55
	v_add_f32_e32 v61, v45, v52
	v_fma_f32 v110, 0xbeae86e6, v54, -v124
	v_fma_f32 v54, 0x3f3bfb3b, v117, -v75
	;; [unrolled: 1-line block ×4, first 2 shown]
	v_fmamk_f32 v59, v66, 0xbf955555, v19
	v_dual_fmamk_f32 v112, v62, 0x3eae86e6, v120 :: v_dual_add_f32 v49, v51, v57
	v_fma_f32 v113, 0x3f5ff5aa, v63, -v120
	v_dual_fmac_f32 v110, 0x3ee1c552, v56 :: v_dual_add_f32 v45, v106, v55
	s_delay_alu instid0(VALU_DEP_4)
	v_dual_add_f32 v79, v47, v73 :: v_dual_add_f32 v56, v58, v59
	v_dual_add_f32 v81, v54, v73 :: v_dual_mul_f32 v122, 0x3f5ff5aa, v63
	v_add_f32_e32 v63, v69, v52
	v_add_f32_e32 v66, v27, v60
	v_fma_f32 v77, 0xbf3bfb3b, v118, -v64
	v_fmamk_f32 v74, v80, 0xbf955555, v21
	v_fma_f32 v117, 0xbeae86e6, v62, -v122
	v_add_f32_e32 v58, v103, v59
	v_add_f32_e32 v59, v50, v59
	;; [unrolled: 1-line block ×3, first 2 shown]
	v_dual_add_f32 v26, v96, v53 :: v_dual_sub_f32 v47, v57, v51
	v_sub_f32_e32 v53, v53, v96
	v_sub_f32_e32 v27, v56, v95
	v_dual_add_f32 v57, v110, v63 :: v_dual_fmac_f32 v112, 0x3ee1c552, v116
	v_add_f32_e32 v54, v95, v56
	v_dual_sub_f32 v56, v66, v71 :: v_dual_fmac_f32 v113, 0x3ee1c552, v116
	v_dual_add_f32 v64, v70, v60 :: v_dual_sub_f32 v63, v63, v110
	v_dual_sub_f32 v46, v59, v105 :: v_dual_fmac_f32 v111, 0x3ee1c552, v115
	v_sub_f32_e32 v51, v55, v106
	v_add_f32_e32 v80, v48, v74
	v_dual_add_f32 v52, v105, v59 :: v_dual_add_f32 v95, v76, v73
	v_add_f32_e32 v55, v72, v65
	v_dual_add_f32 v48, v104, v58 :: v_dual_fmac_f32 v117, 0x3ee1c552, v116
	v_dual_sub_f32 v50, v58, v104 :: v_dual_add_f32 v83, v75, v74
	v_sub_f32_e32 v59, v61, v108
	v_dual_add_f32 v61, v108, v61 :: v_dual_add_f32 v60, v107, v62
	v_dual_sub_f32 v73, v81, v113 :: v_dual_sub_f32 v62, v62, v107
	v_dual_add_f32 v75, v113, v81 :: v_dual_fmac_f32 v78, 0x3ee1c552, v115
	v_dual_fmac_f32 v114, 0x3ee1c552, v115 :: v_dual_add_f32 v81, v67, v94
	v_sub_f32_e32 v67, v67, v94
	v_add_f32_e32 v96, v77, v74
	v_sub_f32_e32 v58, v64, v109
	v_dual_add_f32 v64, v109, v64 :: v_dual_sub_f32 v77, v95, v117
	v_dual_sub_f32 v65, v65, v72 :: v_dual_add_f32 v66, v71, v66
	v_add_f32_e32 v69, v112, v79
	v_sub_f32_e32 v70, v80, v111
	v_dual_add_f32 v71, v117, v95 :: v_dual_sub_f32 v76, v83, v78
	v_dual_sub_f32 v79, v79, v112 :: v_dual_sub_f32 v72, v96, v114
	v_add_f32_e32 v94, v82, v93
	v_add_f32_e32 v95, v42, v152
	v_dual_sub_f32 v82, v82, v93 :: v_dual_add_f32 v93, v91, v92
	v_add_f32_e32 v74, v78, v83
	v_dual_add_f32 v78, v114, v96 :: v_dual_add_f32 v83, v41, v154
	v_dual_sub_f32 v41, v41, v154 :: v_dual_add_f32 v96, v43, v44
	v_sub_f32_e32 v91, v92, v91
	v_sub_f32_e32 v43, v44, v43
	s_delay_alu instid0(VALU_DEP_4)
	v_add_f32_e32 v92, v95, v83
	v_sub_f32_e32 v104, v95, v83
	v_dual_sub_f32 v95, v96, v95 :: v_dual_sub_f32 v42, v42, v152
	v_add_f32_e32 v105, v91, v82
	v_sub_f32_e32 v107, v91, v82
	v_sub_f32_e32 v91, v67, v91
	v_sub_f32_e32 v82, v82, v67
	s_delay_alu instid0(VALU_DEP_4)
	v_dual_add_f32 v106, v43, v42 :: v_dual_add_f32 v67, v105, v67
	v_dual_sub_f32 v108, v43, v42 :: v_dual_sub_f32 v43, v41, v43
	v_dual_sub_f32 v83, v83, v96 :: v_dual_add_f32 v44, v94, v81
	v_dual_add_f32 v80, v111, v80 :: v_dual_sub_f32 v103, v94, v81
	v_sub_f32_e32 v81, v81, v93
	v_sub_f32_e32 v94, v93, v94
	s_delay_alu instid0(VALU_DEP_4)
	v_add_f32_e32 v44, v93, v44
	v_sub_f32_e32 v42, v42, v41
	v_dual_add_f32 v41, v106, v41 :: v_dual_add_f32 v92, v96, v92
	v_mul_f32_e32 v105, 0xbf08b237, v107
	v_mul_f32_e32 v81, 0x3f4a47b2, v81
	;; [unrolled: 1-line block ×3, first 2 shown]
	v_dual_mul_f32 v93, 0x3d64c772, v94 :: v_dual_add_f32 v22, v22, v44
	v_add_f32_e32 v23, v23, v92
	v_mul_f32_e32 v107, 0x3f5ff5aa, v82
	s_waitcnt vmcnt(0)
	s_waitcnt_vscnt null, 0x0
	v_fma_f32 v93, 0x3f3bfb3b, v103, -v93
	s_barrier
	v_fmamk_f32 v92, v92, 0xbf955555, v23
	v_fmamk_f32 v94, v94, 0x3d64c772, v81
	v_dual_mul_f32 v96, 0x3d64c772, v95 :: v_dual_fmamk_f32 v95, v95, 0x3d64c772, v83
	v_fma_f32 v83, 0xbf3bfb3b, v104, -v83
	v_fmamk_f32 v44, v44, 0xbf955555, v22
	v_fma_f32 v81, 0xbf3bfb3b, v103, -v81
	v_fma_f32 v107, 0xbeae86e6, v91, -v107
	buffer_gl0_inv
	v_add_f32_e32 v83, v83, v92
	v_add_f32_e32 v109, v94, v44
	v_mul_f32_e32 v106, 0xbf08b237, v108
	v_mul_f32_e32 v108, 0x3f5ff5aa, v42
	v_dual_fmamk_f32 v103, v91, 0x3eae86e6, v105 :: v_dual_add_f32 v94, v81, v44
	v_add_f32_e32 v91, v93, v44
	v_fma_f32 v96, 0x3f3bfb3b, v104, -v96
	s_delay_alu instid0(VALU_DEP_4) | instskip(SKIP_3) | instid1(VALU_DEP_4)
	v_fma_f32 v108, 0xbeae86e6, v43, -v108
	v_fmac_f32_e32 v107, 0x3ee1c552, v67
	v_fma_f32 v105, 0x3f5ff5aa, v82, -v105
	v_dual_fmac_f32 v103, 0x3ee1c552, v67 :: v_dual_lshlrev_b32 v116, 2, v184
	v_fmac_f32_e32 v108, 0x3ee1c552, v41
	v_fmamk_f32 v104, v43, 0x3eae86e6, v106
	v_fma_f32 v106, 0x3f5ff5aa, v42, -v106
	v_fmac_f32_e32 v105, 0x3ee1c552, v67
	v_dual_sub_f32 v44, v83, v107 :: v_dual_add_f32 v67, v97, v102
	s_delay_alu instid0(VALU_DEP_3) | instskip(SKIP_2) | instid1(VALU_DEP_3)
	v_dual_add_f32 v43, v108, v94 :: v_dual_fmac_f32 v106, 0x3ee1c552, v41
	v_dual_fmac_f32 v104, 0x3ee1c552, v41 :: v_dual_sub_f32 v97, v97, v102
	v_cmp_gt_u16_e64 s0, 28, v184
	v_sub_f32_e32 v81, v91, v106
	v_add_f32_e32 v93, v96, v92
	s_delay_alu instid0(VALU_DEP_4) | instskip(SKIP_1) | instid1(VALU_DEP_3)
	v_dual_add_f32 v110, v95, v92 :: v_dual_add_f32 v41, v104, v109
	v_sub_f32_e32 v95, v109, v104
	v_add_f32_e32 v82, v105, v93
	v_dual_sub_f32 v92, v93, v105 :: v_dual_sub_f32 v93, v94, v108
	v_dual_add_f32 v94, v107, v83 :: v_dual_add_f32 v83, v10, v40
	v_sub_f32_e32 v10, v10, v40
	v_add_f32_e32 v40, v98, v101
	v_dual_sub_f32 v98, v98, v101 :: v_dual_add_f32 v101, v35, v38
	v_add_f32_e32 v102, v11, v39
	v_add_f32_e32 v96, v103, v110
	v_sub_f32_e32 v11, v11, v39
	v_add_f32_e32 v39, v99, v100
	v_sub_f32_e32 v99, v100, v99
	v_sub_f32_e32 v35, v38, v35
	v_add_f32_e32 v38, v40, v67
	v_add_f32_e32 v100, v102, v83
	v_sub_f32_e32 v42, v110, v103
	v_sub_f32_e32 v103, v40, v67
	;; [unrolled: 1-line block ×4, first 2 shown]
	v_add_f32_e32 v105, v99, v98
	v_dual_add_f32 v38, v39, v38 :: v_dual_add_f32 v39, v101, v100
	v_add_f32_e32 v91, v106, v91
	v_dual_sub_f32 v104, v102, v83 :: v_dual_sub_f32 v107, v99, v98
	v_dual_sub_f32 v83, v83, v101 :: v_dual_sub_f32 v102, v101, v102
	v_add_f32_e32 v106, v35, v11
	v_sub_f32_e32 v108, v35, v11
	v_dual_sub_f32 v11, v11, v10 :: v_dual_mul_f32 v100, 0x3d64c772, v40
	v_add_f32_e32 v17, v17, v39
	v_dual_sub_f32 v35, v10, v35 :: v_dual_add_f32 v16, v16, v38
	v_sub_f32_e32 v98, v98, v97
	s_delay_alu instid0(VALU_DEP_4) | instskip(NEXT) | instid1(VALU_DEP_4)
	v_fma_f32 v100, 0x3f3bfb3b, v103, -v100
	v_fmamk_f32 v39, v39, 0xbf955555, v17
	v_mul_f32_e32 v101, 0x3d64c772, v102
	v_fmamk_f32 v38, v38, 0xbf955555, v16
	v_mul_f32_e32 v67, 0x3f4a47b2, v67
	v_mul_f32_e32 v83, 0x3f4a47b2, v83
	v_sub_f32_e32 v99, v97, v99
	v_dual_add_f32 v97, v105, v97 :: v_dual_add_f32 v10, v106, v10
	v_dual_mul_f32 v105, 0xbf08b237, v107 :: v_dual_mul_f32 v106, 0xbf08b237, v108
	s_delay_alu instid0(VALU_DEP_4) | instskip(SKIP_3) | instid1(VALU_DEP_3)
	v_fmamk_f32 v102, v102, 0x3d64c772, v83
	v_fmamk_f32 v40, v40, 0x3d64c772, v67
	v_dual_mul_f32 v107, 0x3f5ff5aa, v98 :: v_dual_mul_f32 v108, 0x3f5ff5aa, v11
	v_fma_f32 v101, 0x3f3bfb3b, v104, -v101
	v_dual_fmamk_f32 v109, v99, 0x3eae86e6, v105 :: v_dual_add_f32 v40, v40, v38
	v_fma_f32 v67, 0xbf3bfb3b, v103, -v67
	v_fma_f32 v103, 0x3f5ff5aa, v98, -v105
	;; [unrolled: 1-line block ×3, first 2 shown]
	s_delay_alu instid0(VALU_DEP_3)
	v_add_f32_e32 v67, v67, v38
	v_dual_add_f32 v105, v102, v39 :: v_dual_add_f32 v102, v100, v38
	v_fma_f32 v83, 0xbf3bfb3b, v104, -v83
	v_fma_f32 v104, 0xbeae86e6, v99, -v107
	v_fmamk_f32 v110, v35, 0x3eae86e6, v106
	v_fma_f32 v35, 0xbeae86e6, v35, -v108
	v_add_f32_e32 v106, v101, v39
	v_add_f32_e32 v83, v83, v39
	v_fmac_f32_e32 v109, 0x3ee1c552, v97
	v_dual_fmac_f32 v11, 0x3ee1c552, v10 :: v_dual_fmac_f32 v104, 0x3ee1c552, v97
	s_delay_alu instid0(VALU_DEP_2) | instskip(NEXT) | instid1(VALU_DEP_2)
	v_dual_sub_f32 v39, v105, v109 :: v_dual_fmac_f32 v110, 0x3ee1c552, v10
	v_dual_fmac_f32 v103, 0x3ee1c552, v97 :: v_dual_sub_f32 v98, v83, v104
	v_fmac_f32_e32 v35, 0x3ee1c552, v10
	v_lshrrev_b32_e32 v10, 2, v184
	s_delay_alu instid0(VALU_DEP_3) | instskip(SKIP_1) | instid1(VALU_DEP_3)
	v_dual_sub_f32 v99, v102, v11 :: v_dual_add_f32 v100, v103, v106
	v_dual_add_f32 v101, v11, v102 :: v_dual_add_f32 v104, v104, v83
	v_mul_u32_u24_e32 v10, 28, v10
	v_sub_f32_e32 v102, v106, v103
	v_add_f32_e32 v97, v35, v67
	v_sub_f32_e32 v103, v67, v35
	v_lshrrev_b32_e32 v67, 2, v90
	v_or_b32_e32 v35, v10, v34
	v_add_f32_e32 v38, v110, v40
	v_sub_f32_e32 v10, v40, v110
	v_lshrrev_b32_e32 v40, 2, v84
	s_delay_alu instid0(VALU_DEP_4)
	v_lshlrev_b32_e32 v83, 3, v35
	v_mul_u32_u24_e32 v35, 28, v67
	ds_store_2addr_b64 v83, v[18:19], v[26:27] offset1:4
	v_or_b32_e32 v18, v35, v34
	v_mul_u32_u24_e32 v19, 28, v40
	v_lshrrev_b32_e32 v26, 2, v89
	ds_store_2addr_b64 v83, v[45:46], v[47:48] offset0:8 offset1:12
	ds_store_2addr_b64 v83, v[49:50], v[51:52] offset0:16 offset1:20
	v_lshlrev_b32_e32 v27, 3, v18
	v_or_b32_e32 v18, v19, v34
	v_lshrrev_b32_e32 v19, 2, v88
	scratch_store_b32 off, v83, off offset:360 ; 4-byte Folded Spill
	ds_store_b64 v83, v[53:54] offset:192
	v_mul_u32_u24_e32 v26, 28, v26
	ds_store_2addr_b64 v27, v[24:25], v[55:56] offset1:4
	ds_store_2addr_b64 v27, v[57:58], v[59:60] offset0:8 offset1:12
	v_lshlrev_b32_e32 v24, 3, v18
	v_mul_u32_u24_e32 v18, 28, v19
	ds_store_2addr_b64 v27, v[61:62], v[63:64] offset0:16 offset1:20
	v_or_b32_e32 v19, v26, v34
	scratch_store_b32 off, v27, off offset:356 ; 4-byte Folded Spill
	ds_store_b64 v27, v[65:66] offset:192
	ds_store_2addr_b64 v24, v[20:21], v[69:70] offset1:4
	v_or_b32_e32 v18, v18, v34
	v_add_f32_e32 v11, v109, v105
	v_lshlrev_b32_e32 v19, 3, v19
	ds_store_2addr_b64 v24, v[71:72], v[73:74] offset0:8 offset1:12
	ds_store_2addr_b64 v24, v[75:76], v[77:78] offset0:16 offset1:20
	scratch_store_b32 off, v24, off offset:344 ; 4-byte Folded Spill
	v_lshlrev_b32_e32 v18, 3, v18
	ds_store_b64 v24, v[79:80] offset:192
	ds_store_2addr_b64 v19, v[22:23], v[41:42] offset1:4
	ds_store_2addr_b64 v19, v[43:44], v[81:82] offset0:8 offset1:12
	ds_store_2addr_b64 v19, v[91:92], v[93:94] offset0:16 offset1:20
	scratch_store_b32 off, v19, off offset:308 ; 4-byte Folded Spill
	ds_store_b64 v19, v[95:96] offset:192
	ds_store_2addr_b64 v18, v[16:17], v[38:39] offset1:4
	ds_store_2addr_b64 v18, v[97:98], v[99:100] offset0:8 offset1:12
	ds_store_2addr_b64 v18, v[101:102], v[103:104] offset0:16 offset1:20
	scratch_store_b32 off, v18, off offset:304 ; 4-byte Folded Spill
	ds_store_b64 v18, v[10:11] offset:192
	s_waitcnt lgkmcnt(0)
	s_waitcnt_vscnt null, 0x0
	s_barrier
	buffer_gl0_inv
	ds_load_2addr_b64 v[20:23], v255 offset1:56
	ds_load_2addr_b64 v[16:19], v36 offset0:128 offset1:212
	ds_load_2addr_b64 v[64:67], v33 offset0:12 offset1:68
	ds_load_2addr_b64 v[40:43], v255 offset0:112 offset1:168
	ds_load_2addr_b64 v[72:75], v33 offset0:124 offset1:180
	ds_load_2addr_b64 v[44:47], v31 offset0:96 offset1:152
	v_add_nc_u32_e32 v31, 0x2c00, v255
	ds_load_2addr_b64 v[80:83], v30 offset0:108 offset1:164
	ds_load_2addr_b64 v[48:51], v29 offset0:80 offset1:136
	;; [unrolled: 1-line block ×11, first 2 shown]
	v_lshlrev_b32_e32 v99, 2, v90
	v_lshlrev_b32_e32 v98, 2, v84
	;; [unrolled: 1-line block ×4, first 2 shown]
	s_and_saveexec_b32 s1, s0
	s_cbranch_execz .LBB0_9
; %bb.8:
	ds_load_b64 v[10:11], v255 offset:7616
	ds_load_b64 v[8:9], v255 offset:15456
.LBB0_9:
	s_or_b32 exec_lo, exec_lo, s1
	v_lshrrev_b16 v91, 2, v90
	v_lshrrev_b16 v92, 2, v84
	v_lshrrev_b16 v95, 2, v89
	v_lshrrev_b16 v101, 2, v85
	v_add_co_u32 v93, s1, 0xffffffe4, v184
	v_and_b32_e32 v91, 63, v91
	v_and_b32_e32 v92, 63, v92
	v_and_b32_e32 v95, 63, v95
	v_add_co_ci_u32_e64 v94, null, 0, -1, s1
	s_delay_alu instid0(VALU_DEP_4) | instskip(NEXT) | instid1(VALU_DEP_4)
	v_mul_lo_u16 v91, v91, 37
	v_mul_lo_u16 v92, v92, 37
	s_delay_alu instid0(VALU_DEP_4)
	v_mul_lo_u16 v95, v95, 37
	v_and_b32_e32 v101, 0xffff, v101
	v_lshrrev_b16 v100, 2, v88
	v_lshrrev_b16 v102, 8, v91
	v_lshrrev_b16 v103, 8, v92
	v_lshrrev_b16 v95, 8, v95
	v_cndmask_b32_e64 v92, v94, 0, s0
	v_cndmask_b32_e64 v91, v93, v184, s0
	v_mul_lo_u16 v94, v102, 28
	v_mul_lo_u16 v106, v103, 28
	v_mul_u32_u24_e32 v101, 0x4925, v101
	v_mul_lo_u16 v108, v95, 28
	v_lshlrev_b64 v[92:93], 3, v[91:92]
	v_sub_nc_u16 v90, v90, v94
	v_sub_nc_u16 v94, v84, v106
	v_lshrrev_b32_e32 v101, 17, v101
	v_sub_nc_u16 v108, v89, v108
	v_lshrrev_b16 v104, 2, v86
	v_and_b32_e32 v90, 0xff, v90
	v_and_b32_e32 v94, 0xff, v94
	v_add_co_u32 v92, s1, s2, v92
	v_mul_lo_u16 v110, v101, 28
	v_and_b32_e32 v108, 0xff, v108
	v_add_co_ci_u32_e64 v93, s1, s3, v93, s1
	v_lshlrev_b32_e32 v106, 3, v90
	v_lshlrev_b32_e32 v107, 3, v94
	v_lshrrev_b16 v105, 2, v87
	v_sub_nc_u16 v85, v85, v110
	v_lshlrev_b32_e32 v110, 3, v108
	s_clause 0x3
	global_load_b64 v[131:132], v[92:93], off offset:192
	global_load_b64 v[137:138], v106, s[2:3] offset:192
	global_load_b64 v[135:136], v107, s[2:3] offset:192
	;; [unrolled: 1-line block ×3, first 2 shown]
	v_and_b32_e32 v100, 0xffff, v100
	v_and_b32_e32 v104, 0xffff, v104
	;; [unrolled: 1-line block ×3, first 2 shown]
	v_add_nc_u16 v110, v184, 0x1f8
	v_add_nc_u16 v122, v184, 0x2d8
	v_mul_u32_u24_e32 v100, 0x4925, v100
	v_mul_u32_u24_e32 v104, 0x4925, v104
	;; [unrolled: 1-line block ×3, first 2 shown]
	v_add_nc_u16 v123, v184, 0x310
	v_add_nc_u16 v124, v184, 0x3b8
	v_lshrrev_b32_e32 v100, 17, v100
	v_lshrrev_b32_e32 v104, 17, v104
	;; [unrolled: 1-line block ×3, first 2 shown]
	v_cmp_lt_u16_e64 s1, 27, v184
	v_lshrrev_b16 v127, 2, v124
	v_mul_lo_u16 v109, v100, 28
	v_mul_lo_u16 v111, v104, 28
	;; [unrolled: 1-line block ×3, first 2 shown]
	v_and_b32_e32 v95, 0xffff, v95
	s_delay_alu instid0(VALU_DEP_4) | instskip(NEXT) | instid1(VALU_DEP_4)
	v_sub_nc_u16 v109, v88, v109
	v_sub_nc_u16 v86, v86, v111
	s_delay_alu instid0(VALU_DEP_4)
	v_sub_nc_u16 v87, v87, v112
	v_and_b32_e32 v112, 0xffff, v85
	v_mul_u32_u24_e32 v95, 56, v95
	v_and_b32_e32 v111, 0xffff, v109
	v_and_b32_e32 v113, 0xffff, v86
	;; [unrolled: 1-line block ×3, first 2 shown]
	v_lshlrev_b32_e32 v93, 3, v112
	v_add_nc_u16 v112, v184, 0x268
	v_lshlrev_b32_e32 v92, 3, v111
	v_lshlrev_b32_e32 v106, 3, v113
	;; [unrolled: 1-line block ×3, first 2 shown]
	s_clause 0x3
	global_load_b64 v[208:209], v92, s[2:3] offset:192
	global_load_b64 v[206:207], v93, s[2:3] offset:192
	;; [unrolled: 1-line block ×4, first 2 shown]
	scratch_load_b64 v[92:93], off, off     ; 8-byte Folded Reload
	v_add_nc_u16 v111, v184, 0x230
	s_waitcnt vmcnt(0)
	v_lshrrev_b16 v93, 2, v110
	v_lshrrev_b16 v107, 2, v112
	v_add_nc_u16 v113, v184, 0x2a0
	v_mad_u16 v86, v104, 56, v86
	v_lshrrev_b16 v106, 2, v111
	v_and_b32_e32 v93, 0xffff, v93
	v_and_b32_e32 v107, 0xffff, v107
	v_lshrrev_b16 v114, 2, v113
	v_mad_u16 v87, v105, 56, v87
	v_and_b32_e32 v106, 0xffff, v106
	v_mad_u16 v100, v100, 56, v109
	v_mul_u32_u24_e32 v107, 0x4925, v107
	v_and_b32_e32 v114, 0xffff, v114
	v_mad_u16 v85, v101, 56, v85
	v_mul_u32_u24_e32 v106, 0x4925, v106
	s_delay_alu instid0(VALU_DEP_4) | instskip(NEXT) | instid1(VALU_DEP_4)
	v_lshrrev_b32_e32 v107, 17, v107
	v_mul_u32_u24_e32 v114, 0x4925, v114
	s_delay_alu instid0(VALU_DEP_3) | instskip(NEXT) | instid1(VALU_DEP_3)
	v_lshrrev_b32_e32 v106, 17, v106
	v_mul_lo_u16 v119, v107, 28
	s_delay_alu instid0(VALU_DEP_3) | instskip(NEXT) | instid1(VALU_DEP_3)
	v_lshrrev_b32_e32 v114, 17, v114
	v_mul_lo_u16 v118, v106, 28
	s_delay_alu instid0(VALU_DEP_3) | instskip(NEXT) | instid1(VALU_DEP_2)
	v_sub_nc_u16 v112, v112, v119
	v_sub_nc_u16 v111, v111, v118
	s_delay_alu instid0(VALU_DEP_2) | instskip(SKIP_4) | instid1(VALU_DEP_3)
	v_and_b32_e32 v121, 0xffff, v112
	s_waitcnt lgkmcnt(8)
	v_mul_f32_e32 v104, v76, v140
	v_mov_b32_e32 v120, v92
	v_mul_u32_u24_e32 v93, 0x4925, v93
	v_fmac_f32_e32 v104, v77, v139
	s_delay_alu instid0(VALU_DEP_3) | instskip(NEXT) | instid1(VALU_DEP_3)
	v_lshrrev_b16 v92, 2, v120
	v_lshrrev_b32_e32 v93, 17, v93
	s_delay_alu instid0(VALU_DEP_2) | instskip(NEXT) | instid1(VALU_DEP_2)
	v_and_b32_e32 v92, 0xffff, v92
	v_mul_lo_u16 v117, v93, 28
	s_delay_alu instid0(VALU_DEP_2) | instskip(NEXT) | instid1(VALU_DEP_2)
	v_mul_u32_u24_e32 v92, 0x4925, v92
	v_sub_nc_u16 v110, v110, v117
	v_mul_lo_u16 v117, v114, 28
	s_delay_alu instid0(VALU_DEP_3) | instskip(NEXT) | instid1(VALU_DEP_3)
	v_lshrrev_b32_e32 v92, 17, v92
	v_and_b32_e32 v119, 0xffff, v110
	s_delay_alu instid0(VALU_DEP_3) | instskip(NEXT) | instid1(VALU_DEP_3)
	v_sub_nc_u16 v113, v113, v117
	v_mul_lo_u16 v115, v92, 28
	s_delay_alu instid0(VALU_DEP_1) | instskip(SKIP_1) | instid1(VALU_DEP_2)
	v_sub_nc_u16 v115, v120, v115
	v_and_b32_e32 v120, 0xffff, v111
	v_and_b32_e32 v118, 0xffff, v115
	v_mad_u16 v92, v92, 56, v115
	v_add_lshl_u32 v115, v95, v108, 3
	v_mad_u16 v95, v114, 56, v113
	s_delay_alu instid0(VALU_DEP_4)
	v_lshlrev_b32_e32 v117, 3, v118
	v_lshlrev_b32_e32 v118, 3, v119
	;; [unrolled: 1-line block ×4, first 2 shown]
	v_and_b32_e32 v121, 0xffff, v113
	s_clause 0x3
	global_load_b64 v[216:217], v117, s[2:3] offset:192
	global_load_b64 v[214:215], v118, s[2:3] offset:192
	;; [unrolled: 1-line block ×4, first 2 shown]
	v_lshrrev_b16 v118, 2, v122
	v_add_nc_u16 v119, v184, 0x348
	v_lshrrev_b16 v120, 2, v123
	v_lshlrev_b32_e32 v117, 3, v121
	v_or_b32_e32 v121, 0x380, v184
	v_and_b32_e32 v118, 0xffff, v118
	v_lshrrev_b16 v125, 2, v119
	v_and_b32_e32 v120, 0xffff, v120
	global_load_b64 v[226:227], v117, s[2:3] offset:192
	v_lshrrev_b16 v126, 2, v121
	v_mul_u32_u24_e32 v118, 0x4925, v118
	v_and_b32_e32 v125, 0xffff, v125
	v_mul_u32_u24_e32 v120, 0x4925, v120
	v_and_b32_e32 v127, 0xffff, v127
	v_and_b32_e32 v126, 0xffff, v126
	v_lshrrev_b32_e32 v118, 17, v118
	v_mul_u32_u24_e32 v125, 0x4925, v125
	v_lshrrev_b32_e32 v120, 17, v120
	v_mul_u32_u24_e32 v127, 0x4925, v127
	v_mul_u32_u24_e32 v126, 0x4925, v126
	v_mul_lo_u16 v128, v118, 28
	v_lshrrev_b32_e32 v125, 17, v125
	v_mul_lo_u16 v129, v120, 28
	v_lshrrev_b32_e32 v127, 17, v127
	v_lshrrev_b32_e32 v126, 17, v126
	v_sub_nc_u16 v122, v122, v128
	v_mul_lo_u16 v128, v125, 28
	v_sub_nc_u16 v123, v123, v129
	v_mul_lo_u16 v127, v127, 28
	v_mul_lo_u16 v129, v126, 28
	v_and_b32_e32 v130, 0xffff, v122
	v_sub_nc_u16 v119, v119, v128
	v_and_b32_e32 v128, 0xffff, v123
	v_sub_nc_u16 v124, v124, v127
	v_sub_nc_u16 v121, v121, v129
	v_lshlrev_b32_e32 v127, 3, v130
	v_and_b32_e32 v129, 0xffff, v119
	v_lshlrev_b32_e32 v128, 3, v128
	v_mad_u16 v101, v120, 56, v123
	v_and_b32_e32 v130, 0xffff, v121
	s_clause 0x1
	global_load_b64 v[224:225], v127, s[2:3] offset:192
	global_load_b64 v[222:223], v128, s[2:3] offset:192
	v_lshlrev_b32_e32 v117, 3, v129
	v_lshlrev_b32_e32 v127, 3, v130
	s_clause 0x1
	global_load_b64 v[220:221], v117, s[2:3] offset:192
	global_load_b64 v[218:219], v127, s[2:3] offset:192
	v_cndmask_b32_e64 v117, 0, 56, s1
	v_and_b32_e32 v102, 0xffff, v102
	v_and_b32_e32 v103, 0xffff, v103
	;; [unrolled: 1-line block ×3, first 2 shown]
	s_delay_alu instid0(VALU_DEP_4) | instskip(NEXT) | instid1(VALU_DEP_4)
	v_add_lshl_u32 v117, v91, v117, 3
	v_mul_u32_u24_e32 v91, 56, v102
	s_delay_alu instid0(VALU_DEP_4) | instskip(SKIP_2) | instid1(VALU_DEP_4)
	v_mul_u32_u24_e32 v102, 56, v103
	v_mad_u16 v103, v126, 56, v121
	v_lshlrev_b32_e32 v121, 3, v85
	v_add_lshl_u32 v129, v91, v90, 3
	v_and_b32_e32 v91, 0xffff, v92
	v_mad_u16 v92, v93, 56, v110
	v_mad_u16 v93, v106, 56, v111
	v_and_b32_e32 v90, 0xffff, v100
	v_mad_u16 v100, v118, 56, v122
	v_lshlrev_b32_e32 v114, 3, v91
	v_and_b32_e32 v85, 0xffff, v92
	s_delay_alu instid0(VALU_DEP_3) | instskip(SKIP_1) | instid1(VALU_DEP_2)
	v_and_b32_e32 v91, 0xffff, v100
	v_mul_f32_e32 v100, v18, v132
	v_lshlrev_b32_e32 v110, 3, v91
	s_delay_alu instid0(VALU_DEP_2) | instskip(SKIP_4) | instid1(VALU_DEP_2)
	v_dual_fmac_f32 v100, v19, v131 :: v_dual_mul_f32 v91, v73, v134
	s_waitcnt vmcnt(8)
	v_mul_f32_e32 v106, v78, v217
	v_mul_f32_e32 v105, v79, v217
	s_waitcnt vmcnt(4) lgkmcnt(4)
	v_dual_fmac_f32 v106, v79, v216 :: v_dual_mul_f32 v79, v58, v227
	s_delay_alu instid0(VALU_DEP_1) | instskip(NEXT) | instid1(VALU_DEP_1)
	v_dual_fmac_f32 v79, v59, v226 :: v_dual_and_b32 v124, 0xffff, v124
	v_lshlrev_b32_e32 v124, 3, v124
	global_load_b64 v[127:128], v124, s[2:3] offset:192
	v_lshlrev_b32_e32 v122, 3, v90
	v_dual_mul_f32 v95, v19, v132 :: v_dual_and_b32 v90, 0xffff, v95
	v_sub_f32_e32 v19, v21, v100
	scratch_store_b32 off, v124, off offset:300 ; 4-byte Folded Spill
	v_add_lshl_u32 v124, v102, v94, 3
	v_mad_u16 v94, v107, 56, v112
	v_fma_f32 v18, v18, v131, -v95
	v_fma_f32 v21, v21, 2.0, -v19
	s_waitcnt vmcnt(0) lgkmcnt(0)
	s_waitcnt_vscnt null, 0x0
	s_barrier
	buffer_gl0_inv
	v_sub_f32_e32 v18, v20, v18
	v_mul_f32_e32 v100, v80, v207
	v_mad_u16 v102, v125, 56, v119
	v_mul_f32_e32 v95, v81, v207
	s_clause 0x1
	scratch_store_b64 off, v[131:132], off offset:312
	scratch_store_b64 off, v[133:134], off offset:320
	v_fma_f32 v20, v20, 2.0, -v18
	v_fmac_f32_e32 v100, v81, v206
	v_and_b32_e32 v92, 0xffff, v101
	v_mul_f32_e32 v101, v83, v205
	v_mul_f32_e32 v81, v60, v225
	ds_store_2addr_b64 v117, v[20:21], v[18:19] offset1:28
	v_fma_f32 v20, v72, v133, -v91
	v_and_b32_e32 v87, 0xffff, v87
	v_dual_mul_f32 v92, v72, v134 :: v_dual_lshlrev_b32 v109, 3, v92
	s_delay_alu instid0(VALU_DEP_3) | instskip(NEXT) | instid1(VALU_DEP_3)
	v_dual_mul_f32 v21, v53, v215 :: v_dual_sub_f32 v20, v42, v20
	v_lshlrev_b32_e32 v119, 3, v87
	v_and_b32_e32 v87, 0xffff, v94
	v_and_b32_e32 v94, 0xffff, v103
	v_dual_fmac_f32 v92, v73, v133 :: v_dual_mul_f32 v73, v52, v215
	s_delay_alu instid0(VALU_DEP_3) | instskip(NEXT) | instid1(VALU_DEP_3)
	v_dual_mul_f32 v103, v77, v140 :: v_dual_lshlrev_b32 v112, 3, v87
	v_dual_mul_f32 v94, v74, v209 :: v_dual_lshlrev_b32 v107, 3, v94
	v_mul_f32_e32 v87, v67, v136
	s_delay_alu instid0(VALU_DEP_4) | instskip(SKIP_1) | instid1(VALU_DEP_4)
	v_fmac_f32_e32 v73, v53, v214
	v_fma_f32 v72, v78, v216, -v105
	v_dual_mul_f32 v77, v56, v211 :: v_dual_fmac_f32 v94, v75, v208
	s_delay_alu instid0(VALU_DEP_4) | instskip(SKIP_1) | instid1(VALU_DEP_3)
	v_fma_f32 v19, v66, v135, -v87
	v_dual_mul_f32 v87, v68, v221 :: v_dual_and_b32 v86, 0xffff, v86
	v_dual_mul_f32 v78, v59, v227 :: v_dual_sub_f32 v53, v45, v94
	v_dual_mul_f32 v90, v66, v136 :: v_dual_lshlrev_b32 v111, 3, v90
	s_delay_alu instid0(VALU_DEP_3) | instskip(SKIP_2) | instid1(VALU_DEP_4)
	v_dual_fmac_f32 v87, v69, v220 :: v_dual_lshlrev_b32 v120, 3, v86
	v_fma_f32 v66, v82, v204, -v101
	v_mul_f32_e32 v91, v71, v219
	v_fmac_f32_e32 v90, v67, v135
	v_and_b32_e32 v86, 0xffff, v93
	v_fma_f32 v67, v76, v139, -v103
	v_dual_mul_f32 v76, v57, v211 :: v_dual_and_b32 v93, 0xffff, v102
	v_mul_f32_e32 v102, v82, v205
	v_mul_f32_e32 v82, v63, v223
	v_fma_f32 v103, v52, v214, -v21
	s_delay_alu instid0(VALU_DEP_4)
	v_fma_f32 v76, v56, v210, -v76
	v_lshlrev_b32_e32 v113, 3, v86
	v_mul_f32_e32 v86, v64, v138
	v_sub_f32_e32 v56, v48, v66
	v_dual_sub_f32 v59, v51, v104 :: v_dual_lshlrev_b32 v118, 3, v85
	v_mul_f32_e32 v85, v65, v138
	s_delay_alu instid0(VALU_DEP_4)
	v_fmac_f32_e32 v86, v65, v137
	v_fma_f32 v65, v80, v206, -v95
	v_mul_f32_e32 v80, v61, v225
	v_fmac_f32_e32 v102, v83, v204
	v_fma_f32 v18, v64, v137, -v85
	v_mul_f32_e32 v83, v62, v223
	v_mul_f32_e32 v85, v69, v221
	v_fma_f32 v80, v60, v224, -v80
	v_sub_f32_e32 v60, v24, v72
	v_lshlrev_b32_e32 v108, 3, v93
	v_mul_f32_e32 v93, v75, v209
	v_mul_f32_e32 v75, v54, v213
	v_fmac_f32_e32 v77, v57, v210
	v_fma_f32 v78, v58, v226, -v78
	v_fmac_f32_e32 v81, v61, v224
	v_fma_f32 v64, v74, v208, -v93
	v_dual_mul_f32 v74, v55, v213 :: v_dual_mul_f32 v93, v70, v219
	v_fmac_f32_e32 v75, v55, v212
	v_fma_f32 v82, v62, v222, -v82
	v_fmac_f32_e32 v83, v63, v222
	s_delay_alu instid0(VALU_DEP_4)
	v_fma_f32 v74, v54, v212, -v74
	v_fma_f32 v85, v68, v220, -v85
	;; [unrolled: 1-line block ×3, first 2 shown]
	v_fmac_f32_e32 v93, v71, v218
	v_sub_f32_e32 v21, v43, v92
	v_sub_f32_e32 v52, v44, v64
	v_dual_sub_f32 v54, v46, v65 :: v_dual_sub_f32 v65, v29, v75
	v_sub_f32_e32 v55, v47, v100
	v_dual_sub_f32 v57, v49, v102 :: v_dual_sub_f32 v58, v50, v67
	v_dual_sub_f32 v61, v25, v106 :: v_dual_sub_f32 v62, v26, v103
	;; [unrolled: 1-line block ×5, first 2 shown]
	v_sub_f32_e32 v72, v36, v82
	v_dual_sub_f32 v70, v34, v80 :: v_dual_sub_f32 v71, v35, v81
	v_sub_f32_e32 v76, v16, v91
	v_dual_sub_f32 v73, v37, v83 :: v_dual_sub_f32 v74, v38, v85
	v_sub_f32_e32 v75, v39, v87
	v_fma_f32 v42, v42, 2.0, -v20
	v_fma_f32 v43, v43, 2.0, -v21
	;; [unrolled: 1-line block ×27, first 2 shown]
	s_clause 0xe
	scratch_store_b64 off, v[137:138], off offset:336
	scratch_store_b64 off, v[135:136], off offset:328
	;; [unrolled: 1-line block ×3, first 2 shown]
	scratch_store_b32 off, v107, off offset:372
	scratch_store_b32 off, v117, off offset:376
	;; [unrolled: 1-line block ×12, first 2 shown]
	v_mul_f32_e32 v95, v9, v128
	v_mul_f32_e32 v101, v8, v128
	s_delay_alu instid0(VALU_DEP_2) | instskip(NEXT) | instid1(VALU_DEP_2)
	v_fma_f32 v95, v8, v127, -v95
	v_dual_fmac_f32 v101, v9, v127 :: v_dual_sub_f32 v8, v22, v18
	v_dual_sub_f32 v9, v23, v86 :: v_dual_sub_f32 v18, v40, v19
	v_sub_f32_e32 v19, v41, v90
	s_delay_alu instid0(VALU_DEP_4) | instskip(NEXT) | instid1(VALU_DEP_4)
	v_dual_sub_f32 v77, v17, v93 :: v_dual_sub_f32 v228, v10, v95
	v_fma_f32 v22, v22, 2.0, -v8
	s_delay_alu instid0(VALU_DEP_4)
	v_fma_f32 v23, v23, 2.0, -v9
	v_fma_f32 v40, v40, 2.0, -v18
	;; [unrolled: 1-line block ×3, first 2 shown]
	v_sub_f32_e32 v229, v11, v101
	v_fma_f32 v17, v17, 2.0, -v77
	s_clause 0x3
	scratch_store_b64 off, v[127:128], off offset:452
	scratch_store_b32 off, v122, off offset:436
	scratch_store_b32 off, v129, off offset:412
	scratch_store_b32 off, v114, off offset:416
	ds_store_2addr_b64 v129, v[22:23], v[8:9] offset1:28
	ds_store_2addr_b64 v124, v[40:41], v[18:19] offset1:28
	ds_store_2addr_b64 v115, v[42:43], v[20:21] offset1:28
	ds_store_2addr_b64 v122, v[44:45], v[52:53] offset1:28
	ds_store_2addr_b64 v121, v[46:47], v[54:55] offset1:28
	s_clause 0x1
	scratch_store_b32 off, v120, off offset:428
	scratch_store_b32 off, v119, off offset:424
	ds_store_2addr_b64 v120, v[48:49], v[56:57] offset1:28
	ds_store_2addr_b64 v119, v[50:51], v[58:59] offset1:28
	;; [unrolled: 1-line block ×11, first 2 shown]
	s_and_saveexec_b32 s1, s0
	s_cbranch_execz .LBB0_11
; %bb.10:
	v_fma_f32 v8, v10, 2.0, -v228
	scratch_load_b32 v10, off, off offset:300 ; 4-byte Folded Reload
	v_fma_f32 v9, v11, 2.0, -v229
	s_waitcnt vmcnt(0)
	v_add_nc_u32_e32 v10, 0x3800, v10
	ds_store_2addr_b64 v10, v[8:9], v[228:229] offset0:112 offset1:140
.LBB0_11:
	s_or_b32 exec_lo, exec_lo, s1
	v_mad_u64_u32 v[28:29], null, v184, 48, s[2:3]
	s_waitcnt lgkmcnt(0)
	s_waitcnt_vscnt null, 0x0
	s_barrier
	buffer_gl0_inv
	v_add_nc_u32_e32 v134, 0x2000, v255
	v_add_nc_u32_e32 v143, 0x2800, v255
	;; [unrolled: 1-line block ×3, first 2 shown]
	s_clause 0x1
	global_load_b128 v[8:11], v[28:29], off offset:416
	global_load_b128 v[16:19], v[28:29], off offset:432
	v_add_nc_u32_e32 v126, 0x1000, v255
	ds_load_2addr_b64 v[20:23], v126 offset0:48 offset1:104
	ds_load_2addr_b64 v[24:27], v134 offset0:96 offset1:152
	ds_load_2addr_b64 v[46:49], v143 offset0:176 offset1:232
	v_add_nc_u32_e32 v127, 0x400, v255
	v_add_nc_u32_e32 v145, 0x3800, v255
	;; [unrolled: 1-line block ×3, first 2 shown]
	s_waitcnt vmcnt(1) lgkmcnt(2)
	v_mul_f32_e32 v50, v20, v11
	v_mul_f32_e32 v31, v23, v11
	s_waitcnt vmcnt(0) lgkmcnt(1)
	v_mul_f32_e32 v32, v25, v19
	v_mul_f32_e32 v30, v21, v11
	;; [unrolled: 1-line block ×3, first 2 shown]
	v_fmac_f32_e32 v50, v21, v10
	v_add_nc_u32_e32 v142, 0x1800, v255
	v_fma_f32 v53, v24, v18, -v32
	v_fma_f32 v51, v20, v10, -v30
	v_mul_f32_e32 v20, v27, v19
	v_mul_f32_e32 v71, v26, v19
	ds_load_2addr_b64 v[32:35], v142 offset0:16 offset1:72
	v_fma_f32 v69, v22, v10, -v31
	v_fma_f32 v76, v26, v18, -v20
	v_fmac_f32_e32 v71, v27, v18
	s_waitcnt lgkmcnt(0)
	v_mul_f32_e32 v59, v34, v17
	s_delay_alu instid0(VALU_DEP_1) | instskip(NEXT) | instid1(VALU_DEP_1)
	v_dual_mul_f32 v68, v22, v11 :: v_dual_fmac_f32 v59, v35, v16
	v_fmac_f32_e32 v68, v23, v10
	ds_load_2addr_b64 v[20:23], v138 offset0:144 offset1:200
	v_fmac_f32_e32 v52, v25, v18
	global_load_b128 v[24:27], v[28:29], off offset:448
	s_waitcnt vmcnt(0) lgkmcnt(0)
	v_mul_f32_e32 v55, v20, v27
	v_mul_f32_e32 v78, v22, v27
	v_dual_mul_f32 v117, v46, v25 :: v_dual_mul_f32 v28, v21, v27
	s_delay_alu instid0(VALU_DEP_3) | instskip(NEXT) | instid1(VALU_DEP_3)
	v_fmac_f32_e32 v55, v21, v26
	v_fmac_f32_e32 v78, v23, v26
	s_delay_alu instid0(VALU_DEP_3) | instskip(NEXT) | instid1(VALU_DEP_4)
	v_fmac_f32_e32 v117, v47, v24
	v_fma_f32 v54, v20, v26, -v28
	v_mul_f32_e32 v20, v23, v27
	v_add_nc_u32_e32 v144, 0x800, v255
	s_delay_alu instid0(VALU_DEP_2)
	v_fma_f32 v77, v22, v26, -v20
	ds_load_2addr_b64 v[20:23], v127 offset0:96 offset1:152
	ds_load_2addr_b64 v[38:41], v144 offset0:80 offset1:136
	s_waitcnt lgkmcnt(1)
	v_mul_f32_e32 v28, v23, v9
	v_mul_f32_e32 v57, v22, v9
	s_delay_alu instid0(VALU_DEP_2) | instskip(SKIP_4) | instid1(VALU_DEP_3)
	v_fma_f32 v56, v22, v8, -v28
	ds_load_2addr_b64 v[28:31], v143 offset0:64 offset1:120
	v_mul_f32_e32 v22, v35, v17
	v_dual_fmac_f32 v57, v23, v8 :: v_dual_add_f32 v120, v56, v54
	v_sub_f32_e32 v150, v56, v54
	v_fma_f32 v58, v34, v16, -v22
	ds_load_2addr_b64 v[34:37], v255 offset1:56
	v_dual_sub_f32 v151, v57, v55 :: v_dual_add_f32 v130, v68, v117
	s_waitcnt lgkmcnt(1)
	v_mul_f32_e32 v61, v30, v25
	v_mul_f32_e32 v22, v31, v25
	s_delay_alu instid0(VALU_DEP_2) | instskip(NEXT) | instid1(VALU_DEP_2)
	v_fmac_f32_e32 v61, v31, v24
	v_fma_f32 v60, v30, v24, -v22
	s_delay_alu instid0(VALU_DEP_2)
	v_dual_add_f32 v146, v57, v55 :: v_dual_sub_f32 v153, v50, v61
	v_add_f32_e32 v147, v50, v61
	ds_load_2addr_b64 v[42:45], v142 offset0:128 offset1:184
	v_add_f32_e32 v121, v51, v60
	v_sub_f32_e32 v152, v51, v60
	s_waitcnt lgkmcnt(0)
	v_mul_f32_e32 v82, v42, v17
	s_delay_alu instid0(VALU_DEP_1) | instskip(NEXT) | instid1(VALU_DEP_1)
	v_fmac_f32_e32 v82, v43, v16
	v_dual_mul_f32 v22, v39, v9 :: v_dual_add_f32 v131, v82, v71
	s_delay_alu instid0(VALU_DEP_1) | instskip(SKIP_2) | instid1(VALU_DEP_3)
	v_fma_f32 v79, v38, v8, -v22
	v_mul_f32_e32 v22, v43, v17
	v_mul_f32_e32 v80, v38, v9
	v_add_f32_e32 v122, v79, v77
	s_delay_alu instid0(VALU_DEP_3) | instskip(SKIP_3) | instid1(VALU_DEP_4)
	v_fma_f32 v81, v42, v16, -v22
	v_mul_f32_e32 v22, v47, v25
	v_add_f32_e32 v42, v58, v53
	v_fmac_f32_e32 v80, v39, v8
	v_add_f32_e32 v124, v81, v76
	s_delay_alu instid0(VALU_DEP_4) | instskip(SKIP_1) | instid1(VALU_DEP_4)
	v_fma_f32 v83, v46, v24, -v22
	v_add_f32_e32 v22, v121, v120
	v_dual_add_f32 v46, v59, v52 :: v_dual_add_f32 v125, v80, v78
	s_delay_alu instid0(VALU_DEP_3) | instskip(NEXT) | instid1(VALU_DEP_3)
	v_dual_sub_f32 v154, v42, v121 :: v_dual_add_f32 v123, v69, v83
	v_add_f32_e32 v43, v42, v22
	v_add_f32_e32 v22, v147, v146
	s_delay_alu instid0(VALU_DEP_1) | instskip(NEXT) | instid1(VALU_DEP_4)
	v_add_f32_e32 v47, v46, v22
	v_add_f32_e32 v22, v123, v122
	s_delay_alu instid0(VALU_DEP_1) | instskip(NEXT) | instid1(VALU_DEP_1)
	v_dual_add_f32 v35, v35, v47 :: v_dual_add_f32 v132, v124, v22
	v_dual_add_f32 v22, v130, v125 :: v_dual_fmamk_f32 v165, v47, 0xbf955555, v35
	s_delay_alu instid0(VALU_DEP_1) | instskip(SKIP_1) | instid1(VALU_DEP_1)
	v_dual_add_f32 v30, v36, v132 :: v_dual_add_f32 v133, v131, v22
	v_lshrrev_b16 v22, 3, v84
	v_dual_add_f32 v31, v37, v133 :: v_dual_and_b32 v22, 31, v22
	s_delay_alu instid0(VALU_DEP_1) | instskip(NEXT) | instid1(VALU_DEP_1)
	v_mul_lo_u16 v22, v22, 37
	v_lshrrev_b16 v22, 8, v22
	s_delay_alu instid0(VALU_DEP_1) | instskip(NEXT) | instid1(VALU_DEP_1)
	v_mul_lo_u16 v22, v22, 56
	v_sub_nc_u16 v22, v84, v22
	s_delay_alu instid0(VALU_DEP_1) | instskip(NEXT) | instid1(VALU_DEP_1)
	v_and_b32_e32 v118, 0xff, v22
	v_mad_u64_u32 v[22:23], null, v118, 48, s[2:3]
	s_clause 0x2
	global_load_b128 v[36:39], v[22:23], off offset:416
	global_load_b128 v[72:75], v[22:23], off offset:432
	global_load_b128 v[84:87], v[22:23], off offset:448
	v_lshrrev_b16 v23, 3, v88
	s_delay_alu instid0(VALU_DEP_1) | instskip(NEXT) | instid1(VALU_DEP_1)
	v_and_b32_e32 v23, 0xffff, v23
	v_mul_u32_u24_e32 v23, 0x2493, v23
	s_delay_alu instid0(VALU_DEP_1) | instskip(NEXT) | instid1(VALU_DEP_1)
	v_lshrrev_b32_e32 v23, 16, v23
	v_mul_lo_u16 v23, v23, 56
	s_delay_alu instid0(VALU_DEP_1) | instskip(SKIP_3) | instid1(VALU_DEP_2)
	v_sub_nc_u16 v70, v88, v23
	v_sub_f32_e32 v23, v53, v58
	v_sub_f32_e32 v155, v46, v147
	s_waitcnt vmcnt(2)
	v_dual_sub_f32 v156, v150, v23 :: v_dual_mul_f32 v137, v40, v37
	v_mul_f32_e32 v62, v41, v37
	s_waitcnt vmcnt(1)
	v_mul_f32_e32 v135, v44, v73
	s_delay_alu instid0(VALU_DEP_3) | instskip(SKIP_2) | instid1(VALU_DEP_2)
	v_fmac_f32_e32 v137, v41, v36
	v_sub_f32_e32 v41, v120, v42
	v_fma_f32 v139, v40, v36, -v62
	v_dual_fmac_f32 v135, v45, v72 :: v_dual_mul_f32 v160, 0x3f4a47b2, v41
	v_dual_mul_f32 v40, v45, v73 :: v_dual_sub_f32 v45, v23, v152
	v_add_f32_e32 v34, v34, v43
	s_delay_alu instid0(VALU_DEP_2) | instskip(NEXT) | instid1(VALU_DEP_3)
	v_fma_f32 v136, v44, v72, -v40
	v_dual_mul_f32 v161, 0xbf08b237, v45 :: v_dual_sub_f32 v40, v52, v59
	v_add_f32_e32 v44, v23, v152
	s_delay_alu instid0(VALU_DEP_4) | instskip(NEXT) | instid1(VALU_DEP_3)
	v_fmamk_f32 v164, v43, 0xbf955555, v34
	v_fmamk_f32 v166, v156, 0x3eae86e6, v161
	s_delay_alu instid0(VALU_DEP_4) | instskip(NEXT) | instid1(VALU_DEP_4)
	v_add_f32_e32 v23, v40, v153
	v_dual_add_f32 v158, v44, v150 :: v_dual_sub_f32 v157, v151, v40
	s_delay_alu instid0(VALU_DEP_2) | instskip(NEXT) | instid1(VALU_DEP_2)
	v_dual_add_f32 v159, v23, v151 :: v_dual_sub_f32 v42, v146, v46
	v_fmac_f32_e32 v166, 0x3ee1c552, v158
	v_dual_fmamk_f32 v23, v154, 0x3d64c772, v160 :: v_dual_sub_f32 v46, v40, v153
	s_delay_alu instid0(VALU_DEP_3) | instskip(SKIP_2) | instid1(VALU_DEP_3)
	v_mul_f32_e32 v162, 0x3f4a47b2, v42
	s_waitcnt vmcnt(0)
	v_mul_f32_e32 v22, v49, v85
	v_dual_add_f32 v168, v23, v164 :: v_dual_mul_f32 v163, 0xbf08b237, v46
	s_delay_alu instid0(VALU_DEP_3) | instskip(NEXT) | instid1(VALU_DEP_3)
	v_dual_mul_f32 v140, v48, v85 :: v_dual_fmamk_f32 v23, v155, 0x3d64c772, v162
	v_fma_f32 v141, v48, v84, -v22
	v_lshrrev_b16 v22, 3, v89
	s_delay_alu instid0(VALU_DEP_4) | instskip(NEXT) | instid1(VALU_DEP_4)
	v_fmamk_f32 v167, v157, 0x3eae86e6, v163
	v_dual_fmac_f32 v140, v49, v84 :: v_dual_add_f32 v169, v23, v165
	s_delay_alu instid0(VALU_DEP_2) | instskip(NEXT) | instid1(VALU_DEP_2)
	v_dual_fmac_f32 v167, 0x3ee1c552, v159 :: v_dual_and_b32 v22, 31, v22
	v_sub_f32_e32 v149, v169, v166
	s_delay_alu instid0(VALU_DEP_2) | instskip(NEXT) | instid1(VALU_DEP_3)
	v_mul_lo_u16 v22, v22, 37
	v_add_f32_e32 v148, v167, v168
	s_delay_alu instid0(VALU_DEP_2) | instskip(NEXT) | instid1(VALU_DEP_1)
	v_lshrrev_b16 v22, 8, v22
	v_mul_lo_u16 v22, v22, 56
	s_delay_alu instid0(VALU_DEP_1) | instskip(NEXT) | instid1(VALU_DEP_1)
	v_sub_nc_u16 v22, v89, v22
	v_and_b32_e32 v119, 0xff, v22
	v_mul_lo_u16 v22, v70, 48
	v_add_nc_u32_e32 v128, 0x1c00, v255
	s_delay_alu instid0(VALU_DEP_3) | instskip(NEXT) | instid1(VALU_DEP_3)
	v_mad_u64_u32 v[42:43], null, v119, 48, s[2:3]
	v_and_b32_e32 v22, 0xffff, v22
	s_delay_alu instid0(VALU_DEP_1) | instskip(NEXT) | instid1(VALU_DEP_1)
	v_add_co_u32 v40, s1, s2, v22
	v_add_co_ci_u32_e64 v41, null, s3, 0, s1
	ds_load_b64 v[22:23], v255 offset:15232
	s_clause 0x5
	global_load_b128 v[88:91], v[42:43], off offset:416
	global_load_b128 v[100:103], v[42:43], off offset:432
	;; [unrolled: 1-line block ×6, first 2 shown]
	ds_load_2addr_b64 v[52:55], v255 offset0:112 offset1:168
	ds_load_2addr_b64 v[64:67], v126 offset0:160 offset1:216
	;; [unrolled: 1-line block ×3, first 2 shown]
	ds_load_2addr_b64 v[56:59], v145 offset1:56
	ds_load_2addr_b64 v[48:51], v144 offset0:192 offset1:248
	ds_load_2addr_b64 v[44:47], v128 offset0:112 offset1:168
	;; [unrolled: 1-line block ×3, first 2 shown]
	s_waitcnt vmcnt(0) lgkmcnt(0)
	s_barrier
	buffer_gl0_inv
	ds_store_2addr_b64 v255, v[34:35], v[148:149] offset1:56
	v_sub_f32_e32 v34, v121, v120
	v_sub_f32_e32 v120, v152, v150
	;; [unrolled: 1-line block ×4, first 2 shown]
	s_delay_alu instid0(VALU_DEP_3) | instskip(SKIP_1) | instid1(VALU_DEP_3)
	v_fma_f32 v147, 0x3f5ff5aa, v120, -v161
	v_mul_f32_e32 v120, 0x3f5ff5aa, v120
	v_fma_f32 v149, 0x3f5ff5aa, v121, -v163
	s_delay_alu instid0(VALU_DEP_3) | instskip(NEXT) | instid1(VALU_DEP_3)
	v_fmac_f32_e32 v147, 0x3ee1c552, v158
	v_fma_f32 v148, 0xbeae86e6, v156, -v120
	v_mul_f32_e32 v120, 0x3f5ff5aa, v121
	v_mul_f32_e32 v146, 0x3d64c772, v154
	v_fmac_f32_e32 v149, 0x3ee1c552, v159
	s_delay_alu instid0(VALU_DEP_3) | instskip(SKIP_1) | instid1(VALU_DEP_4)
	v_fma_f32 v150, 0xbeae86e6, v157, -v120
	v_mul_f32_e32 v120, 0x3d64c772, v155
	v_fma_f32 v146, 0x3f3bfb3b, v34, -v146
	v_fma_f32 v34, 0xbf3bfb3b, v34, -v160
	s_delay_alu instid0(VALU_DEP_4) | instskip(NEXT) | instid1(VALU_DEP_4)
	v_fmac_f32_e32 v150, 0x3ee1c552, v159
	v_fma_f32 v120, 0x3f3bfb3b, v35, -v120
	v_fma_f32 v35, 0xbf3bfb3b, v35, -v162
	v_add_f32_e32 v146, v146, v164
	v_add_f32_e32 v151, v34, v164
	s_delay_alu instid0(VALU_DEP_4) | instskip(NEXT) | instid1(VALU_DEP_4)
	v_add_f32_e32 v153, v120, v165
	v_add_f32_e32 v152, v35, v165
	s_delay_alu instid0(VALU_DEP_4) | instskip(NEXT) | instid1(VALU_DEP_3)
	v_sub_f32_e32 v120, v146, v149
	v_dual_add_f32 v34, v150, v151 :: v_dual_add_f32 v121, v147, v153
	v_fmac_f32_e32 v148, 0x3ee1c552, v158
	s_delay_alu instid0(VALU_DEP_1)
	v_sub_f32_e32 v35, v152, v148
	ds_store_2addr_b64 v255, v[34:35], v[120:121] offset0:112 offset1:168
	v_add_f32_e32 v34, v149, v146
	v_dual_sub_f32 v35, v153, v147 :: v_dual_sub_f32 v120, v151, v150
	v_add_f32_e32 v121, v148, v152
	ds_store_2addr_b64 v127, v[34:35], v[120:121] offset0:96 offset1:152
	v_dual_sub_f32 v34, v168, v167 :: v_dual_add_f32 v35, v166, v169
	v_dual_fmamk_f32 v120, v132, 0xbf955555, v30 :: v_dual_fmamk_f32 v121, v133, 0xbf955555, v31
	ds_store_2addr_b64 v144, v[34:35], v[30:31] offset0:80 offset1:136
	v_dual_sub_f32 v34, v69, v83 :: v_dual_sub_f32 v35, v68, v117
	v_sub_f32_e32 v68, v76, v81
	v_sub_f32_e32 v31, v80, v78
	;; [unrolled: 1-line block ×4, first 2 shown]
	s_delay_alu instid0(VALU_DEP_4) | instskip(SKIP_1) | instid1(VALU_DEP_2)
	v_dual_sub_f32 v30, v79, v77 :: v_dual_add_f32 v81, v68, v34
	v_dual_sub_f32 v79, v125, v131 :: v_dual_sub_f32 v82, v68, v34
	v_dual_sub_f32 v71, v123, v122 :: v_dual_sub_f32 v68, v30, v68
	v_sub_f32_e32 v83, v34, v30
	s_delay_alu instid0(VALU_DEP_4)
	v_add_f32_e32 v81, v81, v30
	v_add_f32_e32 v30, v69, v35
	v_sub_f32_e32 v76, v122, v124
	v_sub_f32_e32 v78, v130, v125
	v_dual_sub_f32 v34, v69, v35 :: v_dual_sub_f32 v69, v31, v69
	v_sub_f32_e32 v117, v35, v31
	v_add_f32_e32 v122, v30, v31
	v_mul_f32_e32 v31, 0x3f4a47b2, v79
	s_delay_alu instid0(VALU_DEP_4) | instskip(SKIP_2) | instid1(VALU_DEP_4)
	v_mul_f32_e32 v79, 0xbf08b237, v34
	v_mul_f32_e32 v34, 0x3f5ff5aa, v83
	v_sub_f32_e32 v77, v124, v123
	v_fmamk_f32 v35, v80, 0x3d64c772, v31
	v_fma_f32 v31, 0xbf3bfb3b, v78, -v31
	s_delay_alu instid0(VALU_DEP_2) | instskip(NEXT) | instid1(VALU_DEP_2)
	v_add_f32_e32 v125, v35, v121
	v_dual_add_f32 v131, v31, v121 :: v_dual_mul_f32 v30, 0x3f4a47b2, v76
	v_mul_f32_e32 v76, 0xbf08b237, v82
	v_fma_f32 v82, 0xbeae86e6, v68, -v34
	v_mul_f32_e32 v34, 0x3f5ff5aa, v117
	s_delay_alu instid0(VALU_DEP_3) | instskip(NEXT) | instid1(VALU_DEP_3)
	v_fmamk_f32 v68, v68, 0x3eae86e6, v76
	v_fmac_f32_e32 v82, 0x3ee1c552, v81
	s_delay_alu instid0(VALU_DEP_3) | instskip(SKIP_3) | instid1(VALU_DEP_4)
	v_fma_f32 v123, 0xbeae86e6, v69, -v34
	v_fmamk_f32 v69, v69, 0x3eae86e6, v79
	v_fmamk_f32 v34, v77, 0x3d64c772, v30
	v_fma_f32 v30, 0xbf3bfb3b, v71, -v30
	v_dual_fmac_f32 v68, 0x3ee1c552, v81 :: v_dual_fmac_f32 v123, 0x3ee1c552, v122
	s_delay_alu instid0(VALU_DEP_4) | instskip(NEXT) | instid1(VALU_DEP_4)
	v_fmac_f32_e32 v69, 0x3ee1c552, v122
	v_dual_sub_f32 v35, v131, v82 :: v_dual_add_f32 v124, v34, v120
	s_delay_alu instid0(VALU_DEP_4) | instskip(NEXT) | instid1(VALU_DEP_4)
	v_add_f32_e32 v130, v30, v120
	v_sub_f32_e32 v31, v125, v68
	s_delay_alu instid0(VALU_DEP_3) | instskip(NEXT) | instid1(VALU_DEP_3)
	v_add_f32_e32 v30, v69, v124
	v_add_f32_e32 v34, v123, v130
	ds_store_2addr_b64 v144, v[30:31], v[34:35] offset0:192 offset1:248
	v_dual_mul_f32 v30, 0x3d64c772, v77 :: v_dual_mul_f32 v31, 0x3d64c772, v80
	v_fma_f32 v35, 0x3f5ff5aa, v83, -v76
	v_fma_f32 v34, 0x3f5ff5aa, v117, -v79
	s_delay_alu instid0(VALU_DEP_3) | instskip(NEXT) | instid1(VALU_DEP_4)
	v_fma_f32 v30, 0x3f3bfb3b, v71, -v30
	v_fma_f32 v31, 0x3f3bfb3b, v78, -v31
	s_delay_alu instid0(VALU_DEP_3) | instskip(NEXT) | instid1(VALU_DEP_2)
	v_dual_fmac_f32 v35, 0x3ee1c552, v81 :: v_dual_fmac_f32 v34, 0x3ee1c552, v122
	v_dual_add_f32 v71, v30, v120 :: v_dual_add_f32 v76, v31, v121
	s_delay_alu instid0(VALU_DEP_1) | instskip(NEXT) | instid1(VALU_DEP_2)
	v_sub_f32_e32 v30, v71, v34
	v_dual_add_f32 v31, v35, v76 :: v_dual_add_f32 v34, v34, v71
	v_sub_f32_e32 v35, v76, v35
	ds_store_2addr_b64 v126, v[30:31], v[34:35] offset0:48 offset1:104
	v_sub_f32_e32 v30, v130, v123
	v_dual_add_f32 v31, v82, v131 :: v_dual_sub_f32 v34, v124, v69
	v_dual_add_f32 v35, v68, v125 :: v_dual_lshlrev_b32 v124, 3, v118
	ds_store_2addr_b64 v126, v[30:31], v[34:35] offset0:160 offset1:216
	v_mul_f32_e32 v30, v57, v87
	v_mul_f32_e32 v34, v60, v75
	v_add_nc_u32_e32 v118, 0x1800, v124
	s_delay_alu instid0(VALU_DEP_3) | instskip(NEXT) | instid1(VALU_DEP_3)
	v_fma_f32 v30, v56, v86, -v30
	v_fmac_f32_e32 v34, v61, v74
	s_delay_alu instid0(VALU_DEP_2) | instskip(SKIP_1) | instid1(VALU_DEP_3)
	v_add_f32_e32 v68, v139, v30
	v_dual_sub_f32 v69, v139, v30 :: v_dual_mul_f32 v30, v56, v87
	v_dual_add_f32 v35, v135, v34 :: v_dual_sub_f32 v34, v34, v135
	s_delay_alu instid0(VALU_DEP_2) | instskip(NEXT) | instid1(VALU_DEP_1)
	v_fmac_f32_e32 v30, v57, v86
	v_add_f32_e32 v56, v137, v30
	v_sub_f32_e32 v57, v137, v30
	v_mul_f32_e32 v30, v65, v39
	s_delay_alu instid0(VALU_DEP_3) | instskip(NEXT) | instid1(VALU_DEP_3)
	v_sub_f32_e32 v79, v56, v35
	v_sub_f32_e32 v83, v57, v34
	s_delay_alu instid0(VALU_DEP_3) | instskip(NEXT) | instid1(VALU_DEP_1)
	v_fma_f32 v30, v64, v38, -v30
	v_add_f32_e32 v71, v30, v141
	v_sub_f32_e32 v76, v30, v141
	v_mul_f32_e32 v30, v64, v39
	s_delay_alu instid0(VALU_DEP_1) | instskip(NEXT) | instid1(VALU_DEP_1)
	v_fmac_f32_e32 v30, v65, v38
	v_add_f32_e32 v64, v30, v140
	v_dual_sub_f32 v65, v30, v140 :: v_dual_mul_f32 v30, v61, v75
	s_delay_alu instid0(VALU_DEP_2) | instskip(NEXT) | instid1(VALU_DEP_2)
	v_sub_f32_e32 v80, v35, v64
	v_sub_f32_e32 v82, v34, v65
	s_delay_alu instid0(VALU_DEP_3) | instskip(NEXT) | instid1(VALU_DEP_1)
	v_fma_f32 v30, v60, v74, -v30
	v_dual_add_f32 v60, v71, v68 :: v_dual_add_f32 v31, v136, v30
	v_sub_f32_e32 v30, v30, v136
	s_delay_alu instid0(VALU_DEP_2) | instskip(SKIP_2) | instid1(VALU_DEP_4)
	v_dual_add_f32 v60, v31, v60 :: v_dual_sub_f32 v61, v68, v31
	v_sub_f32_e32 v77, v31, v71
	v_add_f32_e32 v31, v64, v56
	v_sub_f32_e32 v81, v69, v30
	s_delay_alu instid0(VALU_DEP_2) | instskip(SKIP_3) | instid1(VALU_DEP_3)
	v_dual_mul_f32 v61, 0x3f4a47b2, v61 :: v_dual_add_f32 v78, v35, v31
	v_add_f32_e32 v31, v30, v76
	v_sub_f32_e32 v35, v30, v76
	v_add_f32_e32 v30, v34, v65
	v_dual_fmamk_f32 v34, v77, 0x3d64c772, v61 :: v_dual_add_f32 v117, v31, v69
	s_delay_alu instid0(VALU_DEP_2)
	v_dual_add_f32 v31, v53, v78 :: v_dual_add_f32 v120, v30, v57
	v_add_f32_e32 v30, v52, v60
	v_mul_f32_e32 v52, 0xbf08b237, v35
	v_mul_f32_e32 v53, 0x3f4a47b2, v79
	;; [unrolled: 1-line block ×3, first 2 shown]
	v_fmamk_f32 v78, v78, 0xbf955555, v31
	v_fmamk_f32 v60, v60, 0xbf955555, v30
	s_delay_alu instid0(VALU_DEP_3) | instskip(NEXT) | instid1(VALU_DEP_2)
	v_dual_fmamk_f32 v82, v81, 0x3eae86e6, v52 :: v_dual_fmamk_f32 v121, v83, 0x3eae86e6, v79
	v_add_f32_e32 v122, v34, v60
	v_fmamk_f32 v34, v80, 0x3d64c772, v53
	s_delay_alu instid0(VALU_DEP_3) | instskip(NEXT) | instid1(VALU_DEP_2)
	v_dual_fmac_f32 v82, 0x3ee1c552, v117 :: v_dual_fmac_f32 v121, 0x3ee1c552, v120
	v_add_f32_e32 v123, v34, v78
	s_delay_alu instid0(VALU_DEP_2) | instskip(NEXT) | instid1(VALU_DEP_2)
	v_add_f32_e32 v34, v121, v122
	v_sub_f32_e32 v35, v123, v82
	ds_store_2addr_b64 v118, v[30:31], v[34:35] offset0:16 offset1:72
	v_sub_f32_e32 v34, v76, v69
	v_dual_sub_f32 v35, v65, v57 :: v_dual_lshlrev_b32 v76, 3, v119
	v_sub_f32_e32 v30, v71, v68
	v_dual_sub_f32 v31, v64, v56 :: v_dual_mul_f32 v56, 0x3d64c772, v77
	s_delay_alu instid0(VALU_DEP_3) | instskip(SKIP_2) | instid1(VALU_DEP_4)
	v_add_nc_u32_e32 v71, 0x2000, v76
	v_fma_f32 v52, 0x3f5ff5aa, v34, -v52
	v_mul_f32_e32 v34, 0x3f5ff5aa, v34
	v_fma_f32 v56, 0x3f3bfb3b, v30, -v56
	v_fma_f32 v30, 0xbf3bfb3b, v30, -v61
	;; [unrolled: 1-line block ×3, first 2 shown]
	s_delay_alu instid0(VALU_DEP_4) | instskip(SKIP_1) | instid1(VALU_DEP_3)
	v_fma_f32 v57, 0xbeae86e6, v81, -v34
	v_mul_f32_e32 v34, 0x3f5ff5aa, v35
	v_dual_fmac_f32 v52, 0x3ee1c552, v117 :: v_dual_fmac_f32 v61, 0x3ee1c552, v120
	s_delay_alu instid0(VALU_DEP_3) | instskip(NEXT) | instid1(VALU_DEP_3)
	v_fmac_f32_e32 v57, 0x3ee1c552, v117
	v_fma_f32 v64, 0xbeae86e6, v83, -v34
	v_mul_f32_e32 v34, 0x3d64c772, v80
	s_delay_alu instid0(VALU_DEP_2) | instskip(NEXT) | instid1(VALU_DEP_2)
	v_fmac_f32_e32 v64, 0x3ee1c552, v120
	v_fma_f32 v34, 0x3f3bfb3b, v31, -v34
	v_fma_f32 v31, 0xbf3bfb3b, v31, -v53
	v_add_f32_e32 v53, v56, v60
	v_add_f32_e32 v56, v30, v60
	s_delay_alu instid0(VALU_DEP_4) | instskip(NEXT) | instid1(VALU_DEP_4)
	v_add_f32_e32 v65, v34, v78
	v_add_f32_e32 v60, v31, v78
	s_delay_alu instid0(VALU_DEP_4) | instskip(NEXT) | instid1(VALU_DEP_4)
	v_sub_f32_e32 v34, v53, v61
	v_add_f32_e32 v30, v64, v56
	s_delay_alu instid0(VALU_DEP_4) | instskip(NEXT) | instid1(VALU_DEP_4)
	v_add_f32_e32 v35, v52, v65
	v_sub_f32_e32 v31, v60, v57
	ds_store_2addr_b64 v118, v[30:31], v[34:35] offset0:128 offset1:184
	v_add_f32_e32 v30, v61, v53
	v_sub_f32_e32 v31, v65, v52
	v_sub_f32_e32 v34, v56, v64
	v_add_f32_e32 v35, v57, v60
	v_dual_mul_f32 v53, v62, v103 :: v_dual_add_nc_u32 v52, 0x1c00, v124
	v_mul_f32_e32 v57, v58, v111
	ds_store_2addr_b64 v52, v[30:31], v[34:35] offset0:112 offset1:168
	v_mul_f32_e32 v30, v67, v91
	v_mul_f32_e32 v35, v66, v91
	v_fmac_f32_e32 v57, v59, v110
	v_fmac_f32_e32 v53, v63, v102
	s_delay_alu instid0(VALU_DEP_4) | instskip(SKIP_2) | instid1(VALU_DEP_2)
	v_fma_f32 v34, v66, v90, -v30
	v_mul_f32_e32 v30, v63, v103
	v_fmac_f32_e32 v35, v67, v90
	v_fma_f32 v52, v62, v102, -v30
	v_mul_f32_e32 v30, v59, v111
	s_delay_alu instid0(VALU_DEP_1) | instskip(SKIP_1) | instid1(VALU_DEP_1)
	v_fma_f32 v56, v58, v110, -v30
	v_mul_f32_e32 v30, v49, v89
	v_fma_f32 v58, v48, v88, -v30
	v_mul_f32_e32 v48, v48, v89
	v_mul_f32_e32 v30, v45, v101
	s_delay_alu instid0(VALU_DEP_2) | instskip(NEXT) | instid1(VALU_DEP_2)
	v_fmac_f32_e32 v48, v49, v88
	v_fma_f32 v49, v44, v100, -v30
	v_mul_f32_e32 v44, v44, v101
	v_mul_f32_e32 v30, v41, v109
	s_delay_alu instid0(VALU_DEP_4) | instskip(NEXT) | instid1(VALU_DEP_4)
	v_add_f32_e32 v62, v48, v57
	v_add_f32_e32 v60, v49, v52
	s_delay_alu instid0(VALU_DEP_4) | instskip(NEXT) | instid1(VALU_DEP_4)
	v_fmac_f32_e32 v44, v45, v100
	v_fma_f32 v45, v40, v108, -v30
	v_mul_f32_e32 v40, v40, v109
	v_sub_f32_e32 v48, v48, v57
	s_delay_alu instid0(VALU_DEP_4) | instskip(NEXT) | instid1(VALU_DEP_3)
	v_add_f32_e32 v64, v44, v53
	v_dual_add_f32 v59, v34, v45 :: v_dual_fmac_f32 v40, v41, v108
	v_add_f32_e32 v41, v58, v56
	v_sub_f32_e32 v45, v34, v45
	v_sub_f32_e32 v34, v52, v49
	s_delay_alu instid0(VALU_DEP_4)
	v_sub_f32_e32 v49, v60, v59
	v_add_f32_e32 v63, v35, v40
	v_add_f32_e32 v30, v59, v41
	v_sub_f32_e32 v40, v35, v40
	v_sub_f32_e32 v35, v53, v44
	;; [unrolled: 1-line block ×3, first 2 shown]
	s_delay_alu instid0(VALU_DEP_4) | instskip(SKIP_1) | instid1(VALU_DEP_3)
	v_dual_sub_f32 v52, v62, v64 :: v_dual_add_f32 v61, v60, v30
	v_dual_add_f32 v30, v63, v62 :: v_dual_sub_f32 v53, v64, v63
	v_mul_f32_e32 v44, 0x3f4a47b2, v44
	v_sub_f32_e32 v60, v48, v35
	s_delay_alu instid0(VALU_DEP_3)
	v_dual_mul_f32 v52, 0x3f4a47b2, v52 :: v_dual_add_f32 v65, v64, v30
	v_add_f32_e32 v30, v54, v61
	v_sub_f32_e32 v54, v58, v56
	v_sub_f32_e32 v56, v34, v45
	;; [unrolled: 1-line block ×3, first 2 shown]
	v_add_f32_e32 v31, v55, v65
	v_add_f32_e32 v55, v34, v45
	v_dual_sub_f32 v57, v54, v34 :: v_dual_add_f32 v34, v35, v40
	v_mul_f32_e32 v56, 0xbf08b237, v56
	v_mul_f32_e32 v58, 0xbf08b237, v58
	v_fmamk_f32 v61, v61, 0xbf955555, v30
	s_delay_alu instid0(VALU_DEP_4) | instskip(SKIP_3) | instid1(VALU_DEP_3)
	v_dual_add_f32 v55, v55, v54 :: v_dual_add_f32 v64, v34, v48
	v_fmamk_f32 v34, v49, 0x3d64c772, v44
	v_fmamk_f32 v65, v65, 0xbf955555, v31
	;; [unrolled: 1-line block ×3, first 2 shown]
	v_dual_fmamk_f32 v69, v57, 0x3eae86e6, v56 :: v_dual_add_f32 v66, v34, v61
	v_fmamk_f32 v34, v53, 0x3d64c772, v52
	s_delay_alu instid0(VALU_DEP_2) | instskip(NEXT) | instid1(VALU_DEP_1)
	v_dual_fmac_f32 v68, 0x3ee1c552, v64 :: v_dual_fmac_f32 v69, 0x3ee1c552, v55
	v_dual_add_f32 v67, v34, v65 :: v_dual_add_f32 v34, v68, v66
	s_delay_alu instid0(VALU_DEP_1)
	v_sub_f32_e32 v35, v67, v69
	ds_store_2addr_b64 v71, v[30:31], v[34:35] offset0:152 offset1:208
	v_sub_f32_e32 v30, v59, v41
	v_dual_sub_f32 v34, v45, v54 :: v_dual_sub_f32 v35, v40, v48
	v_dual_mul_f32 v40, 0x3d64c772, v49 :: v_dual_sub_f32 v31, v63, v62
	v_mul_f32_e32 v41, 0x3d64c772, v53
	v_add_nc_u32_e32 v54, 0x2800, v76
	s_delay_alu instid0(VALU_DEP_4) | instskip(NEXT) | instid1(VALU_DEP_4)
	v_fma_f32 v48, 0x3f5ff5aa, v35, -v58
	v_fma_f32 v40, 0x3f3bfb3b, v30, -v40
	;; [unrolled: 1-line block ×4, first 2 shown]
	v_mul_f32_e32 v34, 0x3f5ff5aa, v34
	v_fma_f32 v41, 0x3f3bfb3b, v31, -v41
	v_fma_f32 v31, 0xbf3bfb3b, v31, -v52
	v_add_f32_e32 v40, v40, v61
	v_add_f32_e32 v52, v30, v61
	v_fma_f32 v45, 0xbeae86e6, v57, -v34
	v_dual_mul_f32 v34, 0x3f5ff5aa, v35 :: v_dual_add_f32 v41, v41, v65
	v_dual_add_f32 v53, v31, v65 :: v_dual_fmac_f32 v48, 0x3ee1c552, v64
	s_delay_alu instid0(VALU_DEP_3) | instskip(NEXT) | instid1(VALU_DEP_3)
	v_fmac_f32_e32 v45, 0x3ee1c552, v55
	v_fma_f32 v49, 0xbeae86e6, v60, -v34
	v_fmac_f32_e32 v44, 0x3ee1c552, v55
	v_lshlrev_b32_e32 v60, 3, v97
	s_delay_alu instid0(VALU_DEP_4) | instskip(NEXT) | instid1(VALU_DEP_4)
	v_dual_sub_f32 v34, v40, v48 :: v_dual_sub_f32 v31, v53, v45
	v_fmac_f32_e32 v49, 0x3ee1c552, v64
	s_delay_alu instid0(VALU_DEP_1)
	v_dual_add_f32 v35, v44, v41 :: v_dual_add_f32 v30, v49, v52
	ds_store_2addr_b64 v54, v[30:31], v[34:35] offset0:8 offset1:64
	v_add_f32_e32 v30, v48, v40
	v_mul_f32_e32 v40, v29, v107
	v_dual_sub_f32 v31, v41, v44 :: v_dual_sub_f32 v34, v52, v49
	v_add_f32_e32 v35, v45, v53
	v_mul_f32_e32 v41, v42, v113
	s_delay_alu instid0(VALU_DEP_4)
	v_fma_f32 v40, v28, v106, -v40
	v_mul_f32_e32 v28, v28, v107
	ds_store_2addr_b64 v54, v[30:31], v[34:35] offset0:120 offset1:176
	v_mul_f32_e32 v34, v33, v95
	v_mul_f32_e32 v30, v51, v93
	v_dual_fmac_f32 v28, v29, v106 :: v_dual_mul_f32 v29, v43, v113
	v_mul_f32_e32 v31, v50, v93
	s_delay_alu instid0(VALU_DEP_4) | instskip(SKIP_4) | instid1(VALU_DEP_4)
	v_fma_f32 v34, v32, v94, -v34
	v_mul_f32_e32 v32, v32, v95
	v_fma_f32 v30, v50, v92, -v30
	v_fma_f32 v29, v42, v112, -v29
	v_mul_f32_e32 v42, v23, v115
	v_dual_fmac_f32 v31, v51, v92 :: v_dual_fmac_f32 v32, v33, v94
	v_mul_f32_e32 v33, v47, v105
	v_mul_f32_e32 v35, v46, v105
	s_delay_alu instid0(VALU_DEP_4) | instskip(SKIP_1) | instid1(VALU_DEP_4)
	v_fma_f32 v42, v22, v114, -v42
	v_dual_mul_f32 v22, v22, v115 :: v_dual_fmac_f32 v41, v43, v112
	v_fma_f32 v33, v46, v104, -v33
	v_add_f32_e32 v44, v34, v29
	s_delay_alu instid0(VALU_DEP_4) | instskip(NEXT) | instid1(VALU_DEP_4)
	v_add_f32_e32 v43, v30, v42
	v_fmac_f32_e32 v22, v23, v114
	v_fmac_f32_e32 v35, v47, v104
	v_add_f32_e32 v23, v33, v40
	v_add_f32_e32 v47, v32, v41
	s_delay_alu instid0(VALU_DEP_4) | instskip(NEXT) | instid1(VALU_DEP_4)
	v_dual_add_f32 v45, v44, v43 :: v_dual_add_f32 v46, v31, v22
	v_add_f32_e32 v48, v35, v28
	v_sub_f32_e32 v30, v30, v42
	v_sub_f32_e32 v31, v31, v22
	s_delay_alu instid0(VALU_DEP_4)
	v_add_f32_e32 v45, v23, v45
	v_add_f32_e32 v49, v47, v46
	v_sub_f32_e32 v29, v34, v29
	v_sub_f32_e32 v32, v32, v41
	;; [unrolled: 1-line block ×5, first 2 shown]
	v_add_f32_e32 v49, v48, v49
	v_add_f32_e32 v20, v20, v45
	v_sub_f32_e32 v34, v23, v44
	v_sub_f32_e32 v23, v46, v48
	v_add_f32_e32 v40, v22, v29
	v_sub_f32_e32 v41, v22, v29
	v_sub_f32_e32 v42, v30, v22
	v_dual_add_f32 v22, v28, v32 :: v_dual_mul_f32 v33, 0x3f4a47b2, v33
	v_add_f32_e32 v21, v21, v49
	v_sub_f32_e32 v35, v48, v47
	v_sub_f32_e32 v48, v28, v32
	s_delay_alu instid0(VALU_DEP_4)
	v_add_f32_e32 v50, v22, v31
	v_mul_f32_e32 v51, 0x3f4a47b2, v23
	v_fmamk_f32 v45, v45, 0xbf955555, v20
	v_fmamk_f32 v22, v34, 0x3d64c772, v33
	v_dual_sub_f32 v28, v31, v28 :: v_dual_mul_f32 v41, 0xbf08b237, v41
	v_mul_f32_e32 v48, 0xbf08b237, v48
	s_delay_alu instid0(VALU_DEP_3) | instskip(SKIP_2) | instid1(VALU_DEP_4)
	v_dual_fmamk_f32 v49, v49, 0xbf955555, v21 :: v_dual_add_f32 v52, v22, v45
	v_fmamk_f32 v22, v35, 0x3d64c772, v51
	v_add_f32_e32 v40, v40, v30
	v_dual_fmamk_f32 v54, v28, 0x3eae86e6, v48 :: v_dual_fmamk_f32 v55, v42, 0x3eae86e6, v41
	s_delay_alu instid0(VALU_DEP_3) | instskip(NEXT) | instid1(VALU_DEP_2)
	v_dual_add_f32 v53, v22, v49 :: v_dual_and_b32 v22, 0xffff, v70
	v_dual_fmac_f32 v54, 0x3ee1c552, v50 :: v_dual_fmac_f32 v55, 0x3ee1c552, v40
	s_delay_alu instid0(VALU_DEP_1) | instskip(NEXT) | instid1(VALU_DEP_1)
	v_dual_add_f32 v22, v54, v52 :: v_dual_lshlrev_b32 v57, 3, v22
	v_dual_sub_f32 v23, v53, v55 :: v_dual_add_nc_u32 v56, 0x3000, v57
	scratch_store_b32 off, v57, off offset:448 ; 4-byte Folded Spill
	ds_store_2addr_b64 v56, v[20:21], v[22:23] offset0:32 offset1:88
	v_dual_sub_f32 v22, v29, v30 :: v_dual_sub_f32 v23, v32, v31
	v_dual_sub_f32 v20, v44, v43 :: v_dual_sub_f32 v21, v47, v46
	v_mul_f32_e32 v29, 0x3d64c772, v34
	s_delay_alu instid0(VALU_DEP_3)
	v_fma_f32 v31, 0x3f5ff5aa, v22, -v41
	v_mul_f32_e32 v22, 0x3f5ff5aa, v22
	v_mul_f32_e32 v30, 0x3d64c772, v35
	v_lshlrev_b32_e32 v44, 3, v99
	v_fma_f32 v29, 0x3f3bfb3b, v20, -v29
	v_fma_f32 v20, 0xbf3bfb3b, v20, -v33
	;; [unrolled: 1-line block ×3, first 2 shown]
	v_mul_f32_e32 v22, 0x3f5ff5aa, v23
	v_fma_f32 v30, 0x3f3bfb3b, v21, -v30
	v_fma_f32 v21, 0xbf3bfb3b, v21, -v51
	;; [unrolled: 1-line block ×3, first 2 shown]
	v_add_f32_e32 v29, v29, v45
	v_fma_f32 v28, 0xbeae86e6, v28, -v22
	v_add_f32_e32 v34, v20, v45
	v_add_f32_e32 v30, v30, v49
	;; [unrolled: 1-line block ×3, first 2 shown]
	v_fmac_f32_e32 v33, 0x3ee1c552, v50
	v_fmac_f32_e32 v28, 0x3ee1c552, v50
	;; [unrolled: 1-line block ×4, first 2 shown]
	s_clause 0x1
	scratch_store_b32 off, v124, off offset:440
	scratch_store_b32 off, v76, off offset:444
	v_dual_add_f32 v20, v28, v34 :: v_dual_sub_f32 v21, v35, v32
	v_dual_sub_f32 v22, v29, v33 :: v_dual_add_f32 v23, v31, v30
	ds_store_2addr_b64 v56, v[20:21], v[22:23] offset0:144 offset1:200
	v_dual_add_f32 v20, v33, v29 :: v_dual_sub_f32 v21, v30, v31
	v_dual_sub_f32 v22, v34, v28 :: v_dual_add_f32 v23, v32, v35
	v_add_nc_u32_e32 v28, 0x3800, v57
	v_dual_add_f32 v29, v55, v53 :: v_dual_lshlrev_b32 v34, 3, v116
	ds_store_2addr_b64 v28, v[20:21], v[22:23] offset1:56
	v_sub_f32_e32 v20, v122, v121
	v_add_f32_e32 v21, v82, v123
	v_dual_sub_f32 v22, v66, v68 :: v_dual_add_f32 v23, v69, v67
	v_sub_f32_e32 v28, v52, v54
	v_lshlrev_b32_e32 v52, 3, v98
	ds_store_b64 v124, v[20:21] offset:8960
	ds_store_b64 v76, v[22:23] offset:12096
	;; [unrolled: 1-line block ×3, first 2 shown]
	s_waitcnt lgkmcnt(0)
	s_waitcnt_vscnt null, 0x0
	s_barrier
	buffer_gl0_inv
	s_clause 0x1
	global_load_b128 v[20:23], v34, s[2:3] offset:3104
	global_load_b128 v[40:43], v34, s[2:3] offset:3120
	ds_load_2addr_b64 v[30:33], v142 offset0:16 offset1:72
	ds_load_2addr_b64 v[76:79], v128 offset0:112 offset1:168
	s_clause 0x2
	global_load_b128 v[48:51], v44, s[2:3] offset:3120
	global_load_b128 v[56:59], v52, s[2:3] offset:3120
	global_load_b128 v[64:67], v60, s[2:3] offset:3120
	s_waitcnt vmcnt(4) lgkmcnt(1)
	v_mul_f32_e32 v28, v31, v23
	v_mul_f32_e32 v230, v30, v23
	s_delay_alu instid0(VALU_DEP_2) | instskip(NEXT) | instid1(VALU_DEP_2)
	v_fma_f32 v231, v30, v22, -v28
	v_fmac_f32_e32 v230, v31, v22
	global_load_b128 v[28:31], v44, s[2:3] offset:3104
	s_waitcnt vmcnt(0)
	v_mul_f32_e32 v35, v33, v31
	v_mul_f32_e32 v172, v32, v31
	s_delay_alu instid0(VALU_DEP_2) | instskip(NEXT) | instid1(VALU_DEP_2)
	v_fma_f32 v174, v32, v30, -v35
	v_fmac_f32_e32 v172, v33, v30
	ds_load_2addr_b64 v[32:35], v138 offset0:32 offset1:88
	s_waitcnt lgkmcnt(0)
	v_mul_f32_e32 v45, v33, v43
	v_mul_f32_e32 v232, v32, v43
	;; [unrolled: 1-line block ×3, first 2 shown]
	s_delay_alu instid0(VALU_DEP_3) | instskip(SKIP_4) | instid1(VALU_DEP_3)
	v_fma_f32 v233, v32, v42, -v45
	ds_load_2addr_b64 v[44:47], v144 offset0:192 offset1:248
	v_mul_f32_e32 v32, v35, v51
	v_fmac_f32_e32 v232, v33, v42
	v_fmac_f32_e32 v176, v35, v50
	v_fma_f32 v177, v34, v50, -v32
	s_waitcnt lgkmcnt(0)
	v_mul_f32_e32 v32, v45, v29
	s_delay_alu instid0(VALU_DEP_1) | instskip(SKIP_3) | instid1(VALU_DEP_1)
	v_fma_f32 v179, v44, v28, -v32
	global_load_b128 v[32:35], v52, s[2:3] offset:3104
	s_waitcnt vmcnt(0)
	v_mul_f32_e32 v166, v46, v33
	v_fmac_f32_e32 v166, v47, v32
	v_mul_f32_e32 v178, v44, v29
	v_mul_f32_e32 v44, v47, v33
	s_delay_alu instid0(VALU_DEP_2) | instskip(NEXT) | instid1(VALU_DEP_2)
	v_fmac_f32_e32 v178, v45, v28
	v_fma_f32 v167, v46, v32, -v44
	ds_load_2addr_b64 v[44:47], v129 offset0:80 offset1:136
	s_waitcnt lgkmcnt(0)
	v_mul_f32_e32 v53, v45, v49
	v_mul_f32_e32 v168, v46, v57
	s_delay_alu instid0(VALU_DEP_2) | instskip(SKIP_4) | instid1(VALU_DEP_1)
	v_fma_f32 v181, v44, v48, -v53
	ds_load_2addr_b64 v[52:55], v142 offset0:128 offset1:184
	v_fmac_f32_e32 v168, v47, v56
	v_mul_f32_e32 v180, v44, v49
	v_mul_f32_e32 v44, v47, v57
	v_fma_f32 v169, v46, v56, -v44
	s_waitcnt lgkmcnt(0)
	v_mul_f32_e32 v44, v53, v35
	v_mul_f32_e32 v170, v52, v35
	s_delay_alu instid0(VALU_DEP_2)
	v_fma_f32 v171, v52, v34, -v44
	v_fmac_f32_e32 v180, v45, v48
	global_load_b128 v[44:47], v60, s[2:3] offset:3104
	v_fmac_f32_e32 v170, v53, v34
	s_waitcnt vmcnt(0)
	v_mul_f32_e32 v52, v55, v47
	v_mul_f32_e32 v158, v54, v47
	s_delay_alu instid0(VALU_DEP_2) | instskip(NEXT) | instid1(VALU_DEP_2)
	v_fma_f32 v159, v54, v46, -v52
	v_fmac_f32_e32 v158, v55, v46
	ds_load_2addr_b64 v[52:55], v138 offset0:144 offset1:200
	s_waitcnt lgkmcnt(0)
	v_mul_f32_e32 v61, v53, v59
	v_mul_f32_e32 v173, v52, v59
	s_delay_alu instid0(VALU_DEP_2) | instskip(SKIP_2) | instid1(VALU_DEP_1)
	v_fma_f32 v175, v52, v58, -v61
	ds_load_2addr_b64 v[60:63], v126 offset0:48 offset1:104
	v_dual_mul_f32 v52, v55, v67 :: v_dual_fmac_f32 v173, v53, v58
	v_fma_f32 v161, v54, v66, -v52
	s_waitcnt lgkmcnt(0)
	v_mul_f32_e32 v52, v61, v45
	v_mul_f32_e32 v162, v60, v45
	s_delay_alu instid0(VALU_DEP_2) | instskip(NEXT) | instid1(VALU_DEP_2)
	v_fma_f32 v163, v60, v44, -v52
	v_fmac_f32_e32 v162, v61, v44
	v_mul_f32_e32 v160, v54, v67
	v_lshlrev_b32_e32 v80, 3, v96
	ds_load_2addr_b64 v[96:99], v126 offset0:160 offset1:216
	v_fmac_f32_e32 v160, v55, v66
	global_load_b128 v[52:55], v189, s[2:3] offset:3104
	s_waitcnt vmcnt(0)
	v_mul_f32_e32 v60, v63, v53
	v_mul_f32_e32 v148, v62, v53
	;; [unrolled: 1-line block ×3, first 2 shown]
	s_delay_alu instid0(VALU_DEP_3) | instskip(NEXT) | instid1(VALU_DEP_3)
	v_fma_f32 v149, v62, v52, -v60
	v_fmac_f32_e32 v148, v63, v52
	ds_load_2addr_b64 v[60:63], v143 offset0:64 offset1:120
	v_fmac_f32_e32 v154, v77, v54
	s_waitcnt lgkmcnt(0)
	v_mul_f32_e32 v68, v61, v65
	v_mul_f32_e32 v164, v60, v65
	s_delay_alu instid0(VALU_DEP_2)
	v_fma_f32 v165, v60, v64, -v68
	global_load_b128 v[68:71], v189, s[2:3] offset:3120
	v_fmac_f32_e32 v164, v61, v64
	s_waitcnt vmcnt(0)
	v_mul_f32_e32 v60, v63, v69
	v_mul_f32_e32 v152, v62, v69
	s_delay_alu instid0(VALU_DEP_2) | instskip(SKIP_1) | instid1(VALU_DEP_3)
	v_fma_f32 v153, v62, v68, -v60
	v_mul_f32_e32 v60, v77, v55
	v_fmac_f32_e32 v152, v63, v68
	s_delay_alu instid0(VALU_DEP_2) | instskip(SKIP_4) | instid1(VALU_DEP_2)
	v_fma_f32 v155, v76, v54, -v60
	global_load_b128 v[60:63], v80, s[2:3] offset:3104
	s_waitcnt vmcnt(0)
	v_mul_f32_e32 v76, v79, v63
	v_dual_mul_f32 v135, v78, v63 :: v_dual_mul_f32 v146, v96, v61
	v_fma_f32 v136, v78, v62, -v76
	s_delay_alu instid0(VALU_DEP_2)
	v_fmac_f32_e32 v135, v79, v62
	ds_load_2addr_b64 v[76:79], v145 offset1:56
	v_fmac_f32_e32 v146, v97, v60
	s_waitcnt lgkmcnt(0)
	v_mul_f32_e32 v81, v77, v71
	v_mul_f32_e32 v156, v76, v71
	s_delay_alu instid0(VALU_DEP_2)
	v_fma_f32 v157, v76, v70, -v81
	global_load_b128 v[80:83], v80, s[2:3] offset:3120
	v_fmac_f32_e32 v156, v77, v70
	s_waitcnt vmcnt(0)
	v_mul_f32_e32 v76, v79, v83
	v_mul_f32_e32 v139, v78, v83
	s_delay_alu instid0(VALU_DEP_2) | instskip(NEXT) | instid1(VALU_DEP_2)
	v_fma_f32 v140, v78, v82, -v76
	v_dual_mul_f32 v76, v97, v61 :: v_dual_fmac_f32 v139, v79, v82
	s_delay_alu instid0(VALU_DEP_1) | instskip(SKIP_4) | instid1(VALU_DEP_2)
	v_fma_f32 v147, v96, v60, -v76
	global_load_b128 v[76:79], v187, s[2:3] offset:3104
	s_waitcnt vmcnt(0)
	v_mul_f32_e32 v96, v99, v77
	v_mul_f32_e32 v130, v98, v77
	v_fma_f32 v132, v98, v76, -v96
	s_delay_alu instid0(VALU_DEP_2)
	v_fmac_f32_e32 v130, v99, v76
	ds_load_2addr_b64 v[96:99], v134 offset0:96 offset1:152
	s_waitcnt lgkmcnt(0)
	v_mul_f32_e32 v116, v99, v41
	v_mul_f32_e32 v235, v98, v41
	;; [unrolled: 1-line block ×3, first 2 shown]
	s_delay_alu instid0(VALU_DEP_3)
	v_fma_f32 v236, v98, v40, -v116
	ds_load_2addr_b64 v[116:119], v143 offset0:176 offset1:232
	v_dual_mul_f32 v98, v97, v79 :: v_dual_fmac_f32 v235, v99, v40
	v_fmac_f32_e32 v131, v97, v78
	v_sub_f32_e32 v121, v233, v236
	v_add_f32_e32 v124, v231, v236
	s_delay_alu instid0(VALU_DEP_4)
	v_fma_f32 v133, v96, v78, -v98
	v_add_f32_e32 v125, v230, v235
	v_dual_sub_f32 v241, v230, v235 :: v_dual_sub_f32 v244, v231, v236
	s_waitcnt lgkmcnt(0)
	v_mul_f32_e32 v96, v117, v81
	v_mul_f32_e32 v150, v116, v81
	s_delay_alu instid0(VALU_DEP_2)
	v_fma_f32 v151, v116, v80, -v96
	global_load_b128 v[96:99], v187, s[2:3] offset:3120
	v_fmac_f32_e32 v150, v117, v80
	s_waitcnt vmcnt(0)
	v_mul_f32_e32 v116, v119, v97
	v_mul_f32_e32 v137, v118, v97
	s_delay_alu instid0(VALU_DEP_2) | instskip(NEXT) | instid1(VALU_DEP_2)
	v_fma_f32 v141, v118, v96, -v116
	v_fmac_f32_e32 v137, v119, v96
	ds_load_2addr_b64 v[116:119], v144 offset0:80 offset1:136
	s_waitcnt lgkmcnt(0)
	v_mul_f32_e32 v120, v119, v21
	v_mul_f32_e32 v240, v118, v21
	s_delay_alu instid0(VALU_DEP_2) | instskip(NEXT) | instid1(VALU_DEP_2)
	v_fma_f32 v238, v118, v20, -v120
	v_dual_fmac_f32 v240, v119, v20 :: v_dual_sub_f32 v119, v232, v235
	s_delay_alu instid0(VALU_DEP_2) | instskip(NEXT) | instid1(VALU_DEP_2)
	v_sub_f32_e32 v120, v238, v231
	v_sub_f32_e32 v118, v240, v230
	v_dual_sub_f32 v242, v240, v232 :: v_dual_sub_f32 v243, v238, v233
	v_add_f32_e32 v183, v238, v233
	s_delay_alu instid0(VALU_DEP_4)
	v_add_f32_e32 v237, v120, v121
	ds_load_2addr_b64 v[120:123], v255 offset1:56
	v_dual_add_f32 v239, v118, v119 :: v_dual_sub_f32 v182, v231, v238
	s_waitcnt lgkmcnt(0)
	v_fma_f32 v124, -0.5, v124, v120
	v_fma_f32 v125, -0.5, v125, v121
	s_delay_alu instid0(VALU_DEP_2) | instskip(NEXT) | instid1(VALU_DEP_2)
	v_fmamk_f32 v118, v242, 0x3f737871, v124
	v_dual_fmamk_f32 v119, v243, 0xbf737871, v125 :: v_dual_fmac_f32 v124, 0xbf737871, v242
	v_fmac_f32_e32 v125, 0x3f737871, v243
	s_delay_alu instid0(VALU_DEP_3) | instskip(NEXT) | instid1(VALU_DEP_3)
	v_fmac_f32_e32 v118, 0x3f167918, v241
	v_dual_fmac_f32 v119, 0xbf167918, v244 :: v_dual_fmac_f32 v124, 0xbf167918, v241
	s_delay_alu instid0(VALU_DEP_3) | instskip(NEXT) | instid1(VALU_DEP_2)
	v_fmac_f32_e32 v125, 0x3f167918, v244
	v_dual_fmac_f32 v118, 0x3e9e377a, v237 :: v_dual_fmac_f32 v119, 0x3e9e377a, v239
	s_delay_alu instid0(VALU_DEP_2) | instskip(SKIP_3) | instid1(VALU_DEP_1)
	v_dual_fmac_f32 v124, 0x3e9e377a, v237 :: v_dual_fmac_f32 v125, 0x3e9e377a, v239
	v_sub_f32_e32 v239, v172, v180
	ds_store_b64 v255, v[118:119] offset:3136
	v_dual_add_f32 v119, v121, v240 :: v_dual_add_f32 v118, v120, v238
	v_dual_add_f32 v119, v119, v230 :: v_dual_add_f32 v118, v118, v231
	v_sub_f32_e32 v231, v236, v233
	s_delay_alu instid0(VALU_DEP_2) | instskip(NEXT) | instid1(VALU_DEP_1)
	v_dual_add_f32 v119, v119, v235 :: v_dual_add_f32 v118, v118, v236
	v_add_f32_e32 v246, v119, v232
	v_add_f32_e32 v119, v240, v232
	s_delay_alu instid0(VALU_DEP_3)
	v_add_f32_e32 v245, v118, v233
	v_sub_f32_e32 v118, v230, v240
	v_sub_f32_e32 v230, v235, v232
	v_fma_f32 v235, -0.5, v183, v120
	v_fma_f32 v236, -0.5, v119, v121
	v_add_f32_e32 v120, v182, v231
	s_delay_alu instid0(VALU_DEP_3) | instskip(NEXT) | instid1(VALU_DEP_3)
	v_dual_add_f32 v121, v118, v230 :: v_dual_fmamk_f32 v118, v241, 0xbf737871, v235
	v_fmamk_f32 v119, v244, 0x3f737871, v236
	v_fmac_f32_e32 v235, 0x3f737871, v241
	v_dual_fmac_f32 v236, 0xbf737871, v244 :: v_dual_sub_f32 v241, v174, v181
	s_delay_alu instid0(VALU_DEP_4) | instskip(NEXT) | instid1(VALU_DEP_4)
	v_fmac_f32_e32 v118, 0x3f167918, v242
	v_fmac_f32_e32 v119, 0xbf167918, v243
	s_delay_alu instid0(VALU_DEP_4) | instskip(NEXT) | instid1(VALU_DEP_4)
	v_fmac_f32_e32 v235, 0xbf167918, v242
	v_fmac_f32_e32 v236, 0x3f167918, v243
	v_sub_f32_e32 v242, v179, v177
	s_delay_alu instid0(VALU_DEP_4) | instskip(NEXT) | instid1(VALU_DEP_3)
	v_dual_fmac_f32 v118, 0x3e9e377a, v120 :: v_dual_fmac_f32 v119, 0x3e9e377a, v121
	v_dual_fmac_f32 v235, 0x3e9e377a, v120 :: v_dual_fmac_f32 v236, 0x3e9e377a, v121
	ds_store_b64 v255, v[118:119] offset:6272
	ds_load_2addr_b64 v[118:121], v255 offset0:112 offset1:168
	ds_load_2addr_b64 v[230:233], v127 offset0:96 offset1:152
	ds_store_b64 v255, v[235:236] offset:9408
	ds_store_b64 v255, v[124:125] offset:12544
	v_dual_add_f32 v124, v122, v179 :: v_dual_add_f32 v125, v123, v178
	ds_load_b64 v[235:236], v255 offset:15232
	v_sub_f32_e32 v182, v181, v177
	v_dual_add_f32 v124, v124, v174 :: v_dual_add_f32 v125, v125, v172
	s_delay_alu instid0(VALU_DEP_1) | instskip(NEXT) | instid1(VALU_DEP_1)
	v_dual_add_f32 v124, v124, v181 :: v_dual_add_f32 v125, v125, v180
	v_dual_add_f32 v124, v124, v177 :: v_dual_add_f32 v125, v125, v176
	ds_store_2addr_b64 v255, v[245:246], v[124:125] offset1:56
	v_add_f32_e32 v124, v174, v181
	v_add_f32_e32 v125, v179, v177
	v_sub_f32_e32 v177, v177, v181
	v_sub_f32_e32 v181, v171, v169
	s_delay_alu instid0(VALU_DEP_4) | instskip(NEXT) | instid1(VALU_DEP_4)
	v_fma_f32 v124, -0.5, v124, v122
	v_fma_f32 v122, -0.5, v125, v122
	v_dual_sub_f32 v125, v174, v179 :: v_dual_sub_f32 v174, v179, v174
	v_sub_f32_e32 v179, v170, v168
	v_add_f32_e32 v183, v178, v176
	s_delay_alu instid0(VALU_DEP_3)
	v_dual_sub_f32 v237, v180, v176 :: v_dual_add_f32 v182, v125, v182
	v_add_f32_e32 v125, v172, v180
	v_sub_f32_e32 v240, v178, v176
	v_sub_f32_e32 v176, v176, v180
	v_add_f32_e32 v174, v174, v177
	v_sub_f32_e32 v180, v167, v175
	v_fma_f32 v125, -0.5, v125, v123
	v_fmac_f32_e32 v123, -0.5, v183
	s_delay_alu instid0(VALU_DEP_1) | instskip(NEXT) | instid1(VALU_DEP_1)
	v_dual_sub_f32 v183, v172, v178 :: v_dual_fmamk_f32 v238, v241, 0x3f737871, v123
	v_add_f32_e32 v183, v183, v237
	v_fmamk_f32 v237, v239, 0xbf737871, v122
	v_fmac_f32_e32 v122, 0x3f737871, v239
	v_fmac_f32_e32 v123, 0xbf737871, v241
	;; [unrolled: 1-line block ×3, first 2 shown]
	s_delay_alu instid0(VALU_DEP_4) | instskip(NEXT) | instid1(VALU_DEP_4)
	v_fmac_f32_e32 v237, 0x3f167918, v240
	v_fmac_f32_e32 v122, 0xbf167918, v240
	s_delay_alu instid0(VALU_DEP_4) | instskip(NEXT) | instid1(VALU_DEP_3)
	v_fmac_f32_e32 v123, 0x3f167918, v242
	v_dual_fmac_f32 v238, 0x3e9e377a, v183 :: v_dual_fmac_f32 v237, 0x3e9e377a, v182
	s_delay_alu instid0(VALU_DEP_2)
	v_dual_fmac_f32 v122, 0x3e9e377a, v182 :: v_dual_fmac_f32 v123, 0x3e9e377a, v183
	ds_store_b64 v255, v[237:238] offset:6720
	ds_store_b64 v255, v[122:123] offset:9856
	v_fmamk_f32 v123, v242, 0xbf737871, v125
	v_dual_fmac_f32 v125, 0x3f737871, v242 :: v_dual_fmamk_f32 v122, v240, 0x3f737871, v124
	v_fmac_f32_e32 v124, 0xbf737871, v240
	s_delay_alu instid0(VALU_DEP_3) | instskip(NEXT) | instid1(VALU_DEP_3)
	v_fmac_f32_e32 v123, 0xbf167918, v241
	v_dual_fmac_f32 v125, 0x3f167918, v241 :: v_dual_sub_f32 v172, v178, v172
	s_delay_alu instid0(VALU_DEP_3) | instskip(SKIP_1) | instid1(VALU_DEP_3)
	v_fmac_f32_e32 v124, 0xbf167918, v239
	v_fmac_f32_e32 v122, 0x3f167918, v239
	v_add_f32_e32 v172, v172, v176
	s_delay_alu instid0(VALU_DEP_3) | instskip(NEXT) | instid1(VALU_DEP_3)
	v_fmac_f32_e32 v124, 0x3e9e377a, v174
	v_fmac_f32_e32 v122, 0x3e9e377a, v174
	v_sub_f32_e32 v176, v173, v168
	s_delay_alu instid0(VALU_DEP_4) | instskip(SKIP_4) | instid1(VALU_DEP_1)
	v_fmac_f32_e32 v125, 0x3e9e377a, v172
	v_fmac_f32_e32 v123, 0x3e9e377a, v172
	ds_store_b64 v255, v[124:125] offset:12992
	v_sub_f32_e32 v124, v167, v171
	v_sub_f32_e32 v125, v175, v169
	v_dual_add_f32 v172, v124, v125 :: v_dual_add_f32 v125, v170, v168
	v_add_f32_e32 v124, v171, v169
	s_waitcnt lgkmcnt(8)
	s_delay_alu instid0(VALU_DEP_2) | instskip(NEXT) | instid1(VALU_DEP_2)
	v_fma_f32 v125, -0.5, v125, v119
	v_fma_f32 v124, -0.5, v124, v118
	s_delay_alu instid0(VALU_DEP_2) | instskip(SKIP_1) | instid1(VALU_DEP_2)
	v_fmamk_f32 v177, v180, 0xbf737871, v125
	v_fmac_f32_e32 v125, 0x3f737871, v180
	v_dual_fmac_f32 v177, 0xbf167918, v181 :: v_dual_sub_f32 v174, v166, v170
	v_sub_f32_e32 v178, v166, v173
	s_delay_alu instid0(VALU_DEP_2) | instskip(NEXT) | instid1(VALU_DEP_2)
	v_dual_fmac_f32 v125, 0x3f167918, v181 :: v_dual_add_f32 v174, v174, v176
	v_fmamk_f32 v176, v178, 0x3f737871, v124
	v_fmac_f32_e32 v124, 0xbf737871, v178
	s_delay_alu instid0(VALU_DEP_3) | instskip(NEXT) | instid1(VALU_DEP_3)
	v_fmac_f32_e32 v177, 0x3e9e377a, v174
	v_fmac_f32_e32 v176, 0x3f167918, v179
	s_delay_alu instid0(VALU_DEP_3) | instskip(NEXT) | instid1(VALU_DEP_2)
	v_fmac_f32_e32 v124, 0xbf167918, v179
	v_dual_fmac_f32 v125, 0x3e9e377a, v174 :: v_dual_fmac_f32 v176, 0x3e9e377a, v172
	s_delay_alu instid0(VALU_DEP_2)
	v_fmac_f32_e32 v124, 0x3e9e377a, v172
	ds_store_2addr_b64 v144, v[122:123], v[176:177] offset0:192 offset1:248
	v_dual_add_f32 v122, v118, v167 :: v_dual_add_f32 v123, v119, v166
	ds_store_b64 v255, v[124:125] offset:13440
	v_dual_add_f32 v122, v122, v171 :: v_dual_add_f32 v123, v123, v170
	v_sub_f32_e32 v171, v171, v167
	v_dual_add_f32 v167, v167, v175 :: v_dual_sub_f32 v170, v170, v166
	v_add_f32_e32 v166, v166, v173
	s_delay_alu instid0(VALU_DEP_4) | instskip(NEXT) | instid1(VALU_DEP_3)
	v_dual_add_f32 v122, v122, v169 :: v_dual_sub_f32 v169, v169, v175
	v_fma_f32 v118, -0.5, v167, v118
	s_delay_alu instid0(VALU_DEP_3) | instskip(NEXT) | instid1(VALU_DEP_3)
	v_fma_f32 v119, -0.5, v166, v119
	v_dual_add_f32 v122, v122, v175 :: v_dual_add_f32 v169, v171, v169
	s_delay_alu instid0(VALU_DEP_3) | instskip(NEXT) | instid1(VALU_DEP_3)
	v_fmamk_f32 v166, v179, 0xbf737871, v118
	v_dual_fmac_f32 v118, 0x3f737871, v179 :: v_dual_fmamk_f32 v167, v181, 0x3f737871, v119
	v_fmac_f32_e32 v119, 0xbf737871, v181
	v_dual_add_f32 v123, v123, v168 :: v_dual_sub_f32 v168, v168, v173
	s_delay_alu instid0(VALU_DEP_3) | instskip(NEXT) | instid1(VALU_DEP_3)
	v_dual_fmac_f32 v118, 0xbf167918, v178 :: v_dual_fmac_f32 v167, 0xbf167918, v180
	v_fmac_f32_e32 v119, 0x3f167918, v180
	s_delay_alu instid0(VALU_DEP_3) | instskip(NEXT) | instid1(VALU_DEP_3)
	v_dual_add_f32 v123, v123, v173 :: v_dual_add_f32 v168, v170, v168
	v_fmac_f32_e32 v118, 0x3e9e377a, v169
	v_sub_f32_e32 v170, v159, v165
	v_dual_fmac_f32 v166, 0x3f167918, v178 :: v_dual_sub_f32 v171, v163, v161
	s_delay_alu instid0(VALU_DEP_4) | instskip(NEXT) | instid1(VALU_DEP_2)
	v_fmac_f32_e32 v119, 0x3e9e377a, v168
	v_dual_fmac_f32 v167, 0x3e9e377a, v168 :: v_dual_fmac_f32 v166, 0x3e9e377a, v169
	ds_store_b64 v255, v[118:119] offset:10304
	v_dual_add_f32 v118, v120, v163 :: v_dual_add_f32 v119, v121, v162
	s_delay_alu instid0(VALU_DEP_1) | instskip(NEXT) | instid1(VALU_DEP_1)
	v_dual_add_f32 v118, v118, v159 :: v_dual_add_f32 v119, v119, v158
	v_dual_add_f32 v118, v118, v165 :: v_dual_add_f32 v119, v119, v164
	s_delay_alu instid0(VALU_DEP_1)
	v_dual_add_f32 v118, v118, v161 :: v_dual_add_f32 v119, v119, v160
	ds_store_2addr_b64 v255, v[122:123], v[118:119] offset0:112 offset1:168
	v_add_f32_e32 v118, v159, v165
	v_add_f32_e32 v119, v163, v161
	v_dual_sub_f32 v122, v165, v161 :: v_dual_sub_f32 v123, v164, v160
	v_sub_f32_e32 v169, v162, v160
	s_delay_alu instid0(VALU_DEP_4) | instskip(NEXT) | instid1(VALU_DEP_4)
	v_fma_f32 v118, -0.5, v118, v120
	v_fma_f32 v120, -0.5, v119, v120
	v_sub_f32_e32 v119, v159, v163
	s_delay_alu instid0(VALU_DEP_1) | instskip(SKIP_1) | instid1(VALU_DEP_2)
	v_dual_add_f32 v124, v119, v122 :: v_dual_add_f32 v119, v158, v164
	v_add_f32_e32 v122, v162, v160
	v_fma_f32 v119, -0.5, v119, v121
	s_delay_alu instid0(VALU_DEP_2) | instskip(SKIP_1) | instid1(VALU_DEP_1)
	v_fmac_f32_e32 v121, -0.5, v122
	v_sub_f32_e32 v122, v158, v162
	v_add_f32_e32 v125, v122, v123
	s_delay_alu instid0(VALU_DEP_3) | instskip(SKIP_1) | instid1(VALU_DEP_2)
	v_fmamk_f32 v123, v170, 0x3f737871, v121
	v_dual_sub_f32 v168, v158, v164 :: v_dual_fmac_f32 v121, 0xbf737871, v170
	v_fmac_f32_e32 v123, 0xbf167918, v171
	s_delay_alu instid0(VALU_DEP_2) | instskip(SKIP_1) | instid1(VALU_DEP_4)
	v_fmamk_f32 v122, v168, 0xbf737871, v120
	v_fmac_f32_e32 v120, 0x3f737871, v168
	v_fmac_f32_e32 v121, 0x3f167918, v171
	s_delay_alu instid0(VALU_DEP_4) | instskip(NEXT) | instid1(VALU_DEP_4)
	v_fmac_f32_e32 v123, 0x3e9e377a, v125
	v_fmac_f32_e32 v122, 0x3f167918, v169
	s_delay_alu instid0(VALU_DEP_4) | instskip(NEXT) | instid1(VALU_DEP_4)
	v_fmac_f32_e32 v120, 0xbf167918, v169
	v_fmac_f32_e32 v121, 0x3e9e377a, v125
	v_dual_sub_f32 v125, v160, v164 :: v_dual_sub_f32 v160, v149, v157
	s_delay_alu instid0(VALU_DEP_4) | instskip(NEXT) | instid1(VALU_DEP_4)
	v_fmac_f32_e32 v122, 0x3e9e377a, v124
	v_fmac_f32_e32 v120, 0x3e9e377a, v124
	v_sub_f32_e32 v124, v162, v158
	v_sub_f32_e32 v158, v148, v156
	ds_store_2addr_b64 v142, v[166:167], v[122:123] offset0:128 offset1:184
	ds_store_b64 v255, v[120:121] offset:10752
	v_dual_sub_f32 v122, v163, v159 :: v_dual_sub_f32 v123, v161, v165
	v_fmamk_f32 v120, v169, 0x3f737871, v118
	v_dual_fmac_f32 v118, 0xbf737871, v169 :: v_dual_fmamk_f32 v121, v171, 0xbf737871, v119
	v_fmac_f32_e32 v119, 0x3f737871, v171
	s_delay_alu instid0(VALU_DEP_4) | instskip(NEXT) | instid1(VALU_DEP_3)
	v_dual_add_f32 v122, v122, v123 :: v_dual_add_f32 v123, v124, v125
	v_fmac_f32_e32 v118, 0xbf167918, v168
	s_delay_alu instid0(VALU_DEP_3) | instskip(SKIP_1) | instid1(VALU_DEP_3)
	v_dual_fmac_f32 v120, 0x3f167918, v168 :: v_dual_fmac_f32 v119, 0x3f167918, v170
	v_fmac_f32_e32 v121, 0xbf167918, v170
	v_dual_sub_f32 v159, v154, v152 :: v_dual_fmac_f32 v118, 0x3e9e377a, v122
	s_delay_alu instid0(VALU_DEP_3) | instskip(NEXT) | instid1(VALU_DEP_3)
	v_dual_fmac_f32 v120, 0x3e9e377a, v122 :: v_dual_fmac_f32 v119, 0x3e9e377a, v123
	v_dual_fmac_f32 v121, 0x3e9e377a, v123 :: v_dual_sub_f32 v122, v148, v154
	v_sub_f32_e32 v123, v156, v152
	v_sub_f32_e32 v161, v155, v153
	ds_store_b64 v255, v[118:119] offset:13888
	v_sub_f32_e32 v118, v149, v155
	v_sub_f32_e32 v119, v157, v153
	v_add_f32_e32 v125, v122, v123
	s_delay_alu instid0(VALU_DEP_2) | instskip(SKIP_2) | instid1(VALU_DEP_1)
	v_add_f32_e32 v124, v118, v119
	v_dual_add_f32 v118, v155, v153 :: v_dual_add_f32 v119, v154, v152
	s_waitcnt lgkmcnt(14)
	v_fma_f32 v118, -0.5, v118, v230
	s_delay_alu instid0(VALU_DEP_2) | instskip(NEXT) | instid1(VALU_DEP_2)
	v_fma_f32 v119, -0.5, v119, v231
	v_fmamk_f32 v122, v158, 0x3f737871, v118
	s_delay_alu instid0(VALU_DEP_2) | instskip(SKIP_1) | instid1(VALU_DEP_3)
	v_dual_fmamk_f32 v123, v160, 0xbf737871, v119 :: v_dual_fmac_f32 v118, 0xbf737871, v158
	v_fmac_f32_e32 v119, 0x3f737871, v160
	v_fmac_f32_e32 v122, 0x3f167918, v159
	s_delay_alu instid0(VALU_DEP_3) | instskip(NEXT) | instid1(VALU_DEP_3)
	v_dual_fmac_f32 v123, 0xbf167918, v161 :: v_dual_fmac_f32 v118, 0xbf167918, v159
	v_fmac_f32_e32 v119, 0x3f167918, v161
	s_delay_alu instid0(VALU_DEP_2) | instskip(NEXT) | instid1(VALU_DEP_2)
	v_dual_fmac_f32 v122, 0x3e9e377a, v124 :: v_dual_fmac_f32 v123, 0x3e9e377a, v125
	v_dual_fmac_f32 v118, 0x3e9e377a, v124 :: v_dual_fmac_f32 v119, 0x3e9e377a, v125
	ds_store_2addr_b64 v126, v[120:121], v[122:123] offset0:48 offset1:104
	v_dual_add_f32 v120, v230, v149 :: v_dual_add_f32 v121, v231, v148
	v_dual_add_f32 v122, v232, v147 :: v_dual_add_f32 v123, v233, v146
	ds_store_b64 v255, v[118:119] offset:14336
	v_dual_add_f32 v120, v120, v155 :: v_dual_add_f32 v121, v121, v154
	v_dual_add_f32 v122, v122, v136 :: v_dual_add_f32 v123, v123, v135
	v_add_f32_e32 v118, v136, v151
	s_delay_alu instid0(VALU_DEP_3) | instskip(NEXT) | instid1(VALU_DEP_3)
	v_dual_add_f32 v120, v120, v153 :: v_dual_add_f32 v121, v121, v152
	v_dual_add_f32 v122, v122, v151 :: v_dual_add_f32 v123, v123, v150
	s_delay_alu instid0(VALU_DEP_2) | instskip(NEXT) | instid1(VALU_DEP_3)
	v_dual_add_f32 v119, v147, v140 :: v_dual_add_f32 v120, v120, v157
	v_add_f32_e32 v121, v121, v156
	s_delay_alu instid0(VALU_DEP_3) | instskip(SKIP_1) | instid1(VALU_DEP_4)
	v_dual_add_f32 v122, v122, v140 :: v_dual_add_f32 v123, v123, v139
	v_fma_f32 v118, -0.5, v118, v232
	v_fma_f32 v232, -0.5, v119, v232
	v_sub_f32_e32 v119, v136, v147
	ds_store_2addr_b64 v127, v[120:121], v[122:123] offset0:96 offset1:152
	v_dual_add_f32 v120, v149, v157 :: v_dual_add_f32 v121, v148, v156
	v_sub_f32_e32 v122, v155, v149
	v_sub_f32_e32 v123, v153, v157
	;; [unrolled: 1-line block ×3, first 2 shown]
	s_delay_alu instid0(VALU_DEP_4) | instskip(SKIP_3) | instid1(VALU_DEP_4)
	v_fma_f32 v120, -0.5, v120, v230
	v_fma_f32 v121, -0.5, v121, v231
	v_sub_f32_e32 v148, v152, v156
	v_dual_add_f32 v152, v122, v123 :: v_dual_sub_f32 v153, v147, v140
	v_fmamk_f32 v122, v159, 0xbf737871, v120
	s_delay_alu instid0(VALU_DEP_4) | instskip(NEXT) | instid1(VALU_DEP_4)
	v_dual_fmac_f32 v120, 0x3f737871, v159 :: v_dual_fmamk_f32 v123, v161, 0x3f737871, v121
	v_dual_fmac_f32 v121, 0xbf737871, v161 :: v_dual_add_f32 v148, v149, v148
	s_delay_alu instid0(VALU_DEP_3) | instskip(NEXT) | instid1(VALU_DEP_3)
	v_fmac_f32_e32 v122, 0x3f167918, v158
	v_dual_fmac_f32 v120, 0xbf167918, v158 :: v_dual_fmac_f32 v123, 0xbf167918, v160
	s_delay_alu instid0(VALU_DEP_3) | instskip(NEXT) | instid1(VALU_DEP_3)
	v_fmac_f32_e32 v121, 0x3f167918, v160
	v_dual_sub_f32 v149, v146, v139 :: v_dual_fmac_f32 v122, 0x3e9e377a, v152
	s_delay_alu instid0(VALU_DEP_3) | instskip(NEXT) | instid1(VALU_DEP_4)
	v_fmac_f32_e32 v120, 0x3e9e377a, v152
	v_fmac_f32_e32 v123, 0x3e9e377a, v148
	s_delay_alu instid0(VALU_DEP_4) | instskip(SKIP_3) | instid1(VALU_DEP_1)
	v_dual_fmac_f32 v121, 0x3e9e377a, v148 :: v_dual_sub_f32 v148, v135, v150
	v_sub_f32_e32 v152, v136, v151
	ds_store_b64 v255, v[120:121] offset:11200
	v_dual_sub_f32 v120, v151, v140 :: v_dual_sub_f32 v121, v150, v139
	v_add_f32_e32 v124, v119, v120
	v_dual_add_f32 v119, v135, v150 :: v_dual_add_f32 v120, v146, v139
	s_delay_alu instid0(VALU_DEP_1) | instskip(NEXT) | instid1(VALU_DEP_2)
	v_fma_f32 v119, -0.5, v119, v233
	v_dual_fmac_f32 v233, -0.5, v120 :: v_dual_sub_f32 v120, v135, v146
	v_sub_f32_e32 v135, v146, v135
	s_delay_alu instid0(VALU_DEP_2) | instskip(SKIP_1) | instid1(VALU_DEP_4)
	v_add_f32_e32 v125, v120, v121
	v_fmamk_f32 v120, v148, 0xbf737871, v232
	v_dual_fmamk_f32 v121, v152, 0x3f737871, v233 :: v_dual_fmac_f32 v232, 0x3f737871, v148
	v_fmac_f32_e32 v233, 0xbf737871, v152
	s_delay_alu instid0(VALU_DEP_3) | instskip(NEXT) | instid1(VALU_DEP_3)
	v_fmac_f32_e32 v120, 0x3f167918, v149
	v_fmac_f32_e32 v121, 0xbf167918, v153
	s_delay_alu instid0(VALU_DEP_4) | instskip(NEXT) | instid1(VALU_DEP_4)
	v_fmac_f32_e32 v232, 0xbf167918, v149
	v_fmac_f32_e32 v233, 0x3f167918, v153
	s_delay_alu instid0(VALU_DEP_3) | instskip(NEXT) | instid1(VALU_DEP_2)
	v_dual_fmac_f32 v120, 0x3e9e377a, v124 :: v_dual_fmac_f32 v121, 0x3e9e377a, v125
	v_dual_fmac_f32 v232, 0x3e9e377a, v124 :: v_dual_fmac_f32 v233, 0x3e9e377a, v125
	v_dual_sub_f32 v124, v147, v136 :: v_dual_sub_f32 v125, v140, v151
	ds_store_2addr_b64 v128, v[122:123], v[120:121] offset0:112 offset1:168
	s_waitcnt lgkmcnt(16)
	v_mul_f32_e32 v120, v236, v99
	v_dual_sub_f32 v136, v139, v150 :: v_dual_fmamk_f32 v121, v153, 0xbf737871, v119
	v_fmac_f32_e32 v119, 0x3f737871, v153
	v_add_f32_e32 v124, v124, v125
	s_delay_alu instid0(VALU_DEP_4) | instskip(SKIP_3) | instid1(VALU_DEP_3)
	v_fma_f32 v122, v235, v98, -v120
	v_fmamk_f32 v120, v149, 0x3f737871, v118
	v_dual_fmac_f32 v118, 0xbf737871, v149 :: v_dual_add_f32 v125, v135, v136
	v_fmac_f32_e32 v119, 0x3f167918, v152
	v_dual_mul_f32 v123, v235, v99 :: v_dual_fmac_f32 v120, 0x3f167918, v148
	s_delay_alu instid0(VALU_DEP_3) | instskip(SKIP_1) | instid1(VALU_DEP_4)
	v_fmac_f32_e32 v118, 0xbf167918, v148
	v_fmac_f32_e32 v121, 0xbf167918, v152
	;; [unrolled: 1-line block ×3, first 2 shown]
	s_delay_alu instid0(VALU_DEP_4) | instskip(NEXT) | instid1(VALU_DEP_4)
	v_dual_fmac_f32 v123, v236, v98 :: v_dual_fmac_f32 v120, 0x3e9e377a, v124
	v_dual_fmac_f32 v118, 0x3e9e377a, v124 :: v_dual_sub_f32 v139, v132, v122
	s_delay_alu instid0(VALU_DEP_4) | instskip(NEXT) | instid1(VALU_DEP_3)
	v_fmac_f32_e32 v121, 0x3e9e377a, v125
	v_dual_sub_f32 v135, v130, v123 :: v_dual_sub_f32 v136, v131, v137
	ds_store_b64 v255, v[118:119] offset:14784
	v_dual_add_f32 v118, v116, v132 :: v_dual_add_f32 v119, v117, v130
	v_sub_f32_e32 v140, v133, v141
	s_delay_alu instid0(VALU_DEP_2) | instskip(NEXT) | instid1(VALU_DEP_1)
	v_dual_add_f32 v118, v118, v133 :: v_dual_add_f32 v119, v119, v131
	v_add_f32_e32 v118, v118, v141
	s_delay_alu instid0(VALU_DEP_1) | instskip(NEXT) | instid1(VALU_DEP_1)
	v_dual_add_f32 v119, v119, v137 :: v_dual_add_f32 v118, v118, v122
	v_add_f32_e32 v119, v119, v123
	ds_store_b64 v255, v[232:233] offset:11648
	ds_store_b64 v255, v[118:119] offset:2688
	v_sub_f32_e32 v118, v132, v133
	v_sub_f32_e32 v119, v122, v141
	s_delay_alu instid0(VALU_DEP_1) | instskip(SKIP_2) | instid1(VALU_DEP_2)
	v_add_f32_e32 v124, v118, v119
	v_add_f32_e32 v118, v133, v141
	;; [unrolled: 1-line block ×3, first 2 shown]
	v_fma_f32 v232, -0.5, v118, v116
	s_delay_alu instid0(VALU_DEP_2) | instskip(SKIP_1) | instid1(VALU_DEP_1)
	v_fma_f32 v233, -0.5, v119, v117
	v_dual_sub_f32 v118, v130, v131 :: v_dual_sub_f32 v119, v123, v137
	v_dual_add_f32 v125, v118, v119 :: v_dual_fmamk_f32 v118, v135, 0x3f737871, v232
	s_delay_alu instid0(VALU_DEP_3) | instskip(SKIP_1) | instid1(VALU_DEP_3)
	v_dual_fmamk_f32 v119, v139, 0xbf737871, v233 :: v_dual_fmac_f32 v232, 0xbf737871, v135
	v_fmac_f32_e32 v233, 0x3f737871, v139
	v_fmac_f32_e32 v118, 0x3f167918, v136
	s_delay_alu instid0(VALU_DEP_3) | instskip(NEXT) | instid1(VALU_DEP_4)
	v_fmac_f32_e32 v119, 0xbf167918, v140
	v_fmac_f32_e32 v232, 0xbf167918, v136
	s_delay_alu instid0(VALU_DEP_4) | instskip(NEXT) | instid1(VALU_DEP_3)
	v_fmac_f32_e32 v233, 0x3f167918, v140
	v_dual_fmac_f32 v118, 0x3e9e377a, v124 :: v_dual_fmac_f32 v119, 0x3e9e377a, v125
	s_delay_alu instid0(VALU_DEP_2) | instskip(SKIP_4) | instid1(VALU_DEP_3)
	v_dual_fmac_f32 v232, 0x3e9e377a, v124 :: v_dual_fmac_f32 v233, 0x3e9e377a, v125
	ds_store_2addr_b64 v126, v[120:121], v[118:119] offset0:160 offset1:216
	v_add_f32_e32 v118, v132, v122
	v_sub_f32_e32 v119, v141, v122
	v_sub_f32_e32 v120, v137, v123
	v_fma_f32 v116, -0.5, v118, v116
	v_sub_f32_e32 v118, v133, v132
	s_delay_alu instid0(VALU_DEP_2) | instskip(SKIP_1) | instid1(VALU_DEP_3)
	v_fmamk_f32 v230, v136, 0xbf737871, v116
	v_fmac_f32_e32 v116, 0x3f737871, v136
	v_add_f32_e32 v118, v118, v119
	v_add_f32_e32 v119, v130, v123
	s_delay_alu instid0(VALU_DEP_4) | instskip(NEXT) | instid1(VALU_DEP_4)
	v_fmac_f32_e32 v230, 0x3f167918, v135
	v_fmac_f32_e32 v116, 0xbf167918, v135
	s_delay_alu instid0(VALU_DEP_3) | instskip(SKIP_1) | instid1(VALU_DEP_4)
	v_fmac_f32_e32 v117, -0.5, v119
	v_sub_f32_e32 v119, v131, v130
	v_fmac_f32_e32 v230, 0x3e9e377a, v118
	s_delay_alu instid0(VALU_DEP_4) | instskip(NEXT) | instid1(VALU_DEP_4)
	v_fmac_f32_e32 v116, 0x3e9e377a, v118
	v_dual_fmamk_f32 v231, v140, 0x3f737871, v117 :: v_dual_lshlrev_b32 v118, 3, v184
	v_fmac_f32_e32 v117, 0xbf737871, v140
	v_add_f32_e32 v119, v119, v120
	s_delay_alu instid0(VALU_DEP_3) | instskip(NEXT) | instid1(VALU_DEP_4)
	v_add_co_u32 v120, s1, s12, v118
	v_fmac_f32_e32 v231, 0xbf167918, v139
	s_delay_alu instid0(VALU_DEP_4) | instskip(SKIP_1) | instid1(VALU_DEP_4)
	v_fmac_f32_e32 v117, 0x3f167918, v139
	v_add_co_ci_u32_e64 v121, null, s13, 0, s1
	v_add_co_u32 v118, s1, 0x3000, v120
	s_delay_alu instid0(VALU_DEP_4) | instskip(NEXT) | instid1(VALU_DEP_4)
	v_fmac_f32_e32 v231, 0x3e9e377a, v119
	v_fmac_f32_e32 v117, 0x3e9e377a, v119
	s_delay_alu instid0(VALU_DEP_4)
	v_add_co_ci_u32_e64 v119, s1, 0, v121, s1
	ds_store_b64 v255, v[230:231] offset:8960
	ds_store_b64 v255, v[116:117] offset:12096
	;; [unrolled: 1-line block ×3, first 2 shown]
	s_waitcnt lgkmcnt(0)
	s_barrier
	buffer_gl0_inv
	global_load_b64 v[118:119], v[118:119], off offset:3392
	ds_load_2addr_b64 v[122:125], v255 offset1:56
	s_waitcnt vmcnt(0) lgkmcnt(0)
	v_mul_f32_e32 v130, v123, v119
	v_mul_f32_e32 v131, v122, v119
	s_delay_alu instid0(VALU_DEP_2) | instskip(NEXT) | instid1(VALU_DEP_2)
	v_fma_f32 v130, v122, v118, -v130
	v_fmac_f32_e32 v131, v123, v118
	v_add_co_u32 v118, s1, 0x3d40, v120
	s_delay_alu instid0(VALU_DEP_1)
	v_add_co_ci_u32_e64 v119, s1, 0, v121, s1
	ds_store_b64 v255, v[130:131]
	s_clause 0x2
	global_load_b64 v[122:123], v[118:119], off offset:448
	global_load_b64 v[158:159], v[118:119], off offset:896
	;; [unrolled: 1-line block ×3, first 2 shown]
	s_waitcnt vmcnt(2)
	v_mul_f32_e32 v132, v125, v123
	v_mul_f32_e32 v136, v124, v123
	s_delay_alu instid0(VALU_DEP_2)
	v_fma_f32 v135, v124, v122, -v132
	global_load_b64 v[123:124], v[118:119], off offset:3920
	v_fmac_f32_e32 v136, v125, v122
	v_add_nc_u32_e32 v122, 0xc00, v255
	ds_load_2addr_b64 v[130:133], v122 offset0:106 offset1:162
	s_waitcnt vmcnt(0) lgkmcnt(0)
	v_mul_f32_e32 v125, v131, v124
	v_mul_f32_e32 v140, v130, v124
	s_delay_alu instid0(VALU_DEP_2) | instskip(NEXT) | instid1(VALU_DEP_2)
	v_fma_f32 v139, v130, v123, -v125
	v_fmac_f32_e32 v140, v131, v123
	v_add_co_u32 v123, s1, 0x4000, v120
	s_delay_alu instid0(VALU_DEP_1) | instskip(SKIP_4) | instid1(VALU_DEP_2)
	v_add_co_ci_u32_e64 v124, s1, 0, v121, s1
	global_load_b64 v[123:124], v[123:124], off offset:3664
	s_waitcnt vmcnt(0)
	v_mul_f32_e32 v125, v133, v124
	v_mul_f32_e32 v147, v132, v124
	v_fma_f32 v146, v132, v123, -v125
	s_delay_alu instid0(VALU_DEP_2) | instskip(SKIP_1) | instid1(VALU_DEP_1)
	v_fmac_f32_e32 v147, v133, v123
	v_add_co_u32 v123, s1, 0x5000, v120
	v_add_co_ci_u32_e64 v124, s1, 0, v121, s1
	ds_load_2addr_b64 v[130:133], v128 offset0:84 offset1:140
	v_add_co_u32 v152, s1, 0x6000, v120
	global_load_b64 v[148:149], v[123:124], off offset:3040
	v_add_co_ci_u32_e64 v153, s1, 0, v121, s1
	s_clause 0x6
	global_load_b64 v[162:163], v[123:124], off offset:16
	global_load_b64 v[166:167], v[123:124], off offset:3936
	;; [unrolled: 1-line block ×7, first 2 shown]
	s_waitcnt vmcnt(7) lgkmcnt(0)
	v_mul_f32_e32 v125, v131, v149
	v_mul_f32_e32 v151, v130, v149
	s_delay_alu instid0(VALU_DEP_2) | instskip(NEXT) | instid1(VALU_DEP_2)
	v_fma_f32 v150, v130, v148, -v125
	v_fmac_f32_e32 v151, v131, v148
	global_load_b64 v[130:131], v[123:124], off offset:3488
	s_waitcnt vmcnt(0)
	v_mul_f32_e32 v125, v133, v131
	v_mul_f32_e32 v149, v132, v131
	s_delay_alu instid0(VALU_DEP_2) | instskip(NEXT) | instid1(VALU_DEP_2)
	v_fma_f32 v148, v132, v130, -v125
	v_fmac_f32_e32 v149, v133, v130
	ds_load_2addr_b64 v[130:133], v143 offset0:190 offset1:246
	s_waitcnt lgkmcnt(0)
	v_mul_f32_e32 v125, v131, v155
	v_mul_f32_e32 v157, v130, v155
	s_delay_alu instid0(VALU_DEP_2) | instskip(NEXT) | instid1(VALU_DEP_2)
	v_fma_f32 v156, v130, v154, -v125
	v_fmac_f32_e32 v157, v131, v154
	global_load_b64 v[130:131], v[152:153], off offset:3312
	s_waitcnt vmcnt(0)
	v_mul_f32_e32 v125, v133, v131
	v_mul_f32_e32 v155, v132, v131
	s_delay_alu instid0(VALU_DEP_2) | instskip(NEXT) | instid1(VALU_DEP_2)
	v_fma_f32 v154, v132, v130, -v125
	v_fmac_f32_e32 v155, v133, v130
	ds_load_2addr_b64 v[130:133], v255 offset0:112 offset1:168
	s_waitcnt lgkmcnt(0)
	;; [unrolled: 14-line block ×5, first 2 shown]
	v_mul_f32_e32 v125, v131, v171
	v_mul_f32_e32 v173, v130, v171
	s_delay_alu instid0(VALU_DEP_2) | instskip(NEXT) | instid1(VALU_DEP_2)
	v_fma_f32 v172, v130, v170, -v125
	v_fmac_f32_e32 v173, v131, v170
	v_add_co_u32 v170, s1, 0x7000, v120
	s_delay_alu instid0(VALU_DEP_1)
	v_add_co_ci_u32_e64 v171, s1, 0, v121, s1
	s_clause 0x1
	global_load_b64 v[120:121], v[170:171], off offset:112
	global_load_b64 v[241:242], v[170:171], off offset:560
	s_waitcnt vmcnt(1)
	v_mul_f32_e32 v125, v133, v121
	v_mul_f32_e32 v175, v132, v121
	s_delay_alu instid0(VALU_DEP_2) | instskip(NEXT) | instid1(VALU_DEP_2)
	v_fma_f32 v174, v132, v120, -v125
	v_fmac_f32_e32 v175, v133, v120
	global_load_b64 v[120:121], v[118:119], off offset:1792
	ds_load_2addr_b64 v[130:133], v127 offset0:96 offset1:152
	s_waitcnt vmcnt(0) lgkmcnt(0)
	v_mul_f32_e32 v125, v131, v121
	v_mul_f32_e32 v177, v130, v121
	s_delay_alu instid0(VALU_DEP_2) | instskip(NEXT) | instid1(VALU_DEP_2)
	v_fma_f32 v176, v130, v120, -v125
	v_fmac_f32_e32 v177, v131, v120
	global_load_b64 v[120:121], v[118:119], off offset:2240
	s_waitcnt vmcnt(0)
	v_mul_f32_e32 v125, v133, v121
	v_mul_f32_e32 v179, v132, v121
	s_delay_alu instid0(VALU_DEP_2) | instskip(NEXT) | instid1(VALU_DEP_2)
	v_fma_f32 v178, v132, v120, -v125
	v_dual_fmac_f32 v179, v133, v120 :: v_dual_add_nc_u32 v120, 0x1400, v255
	ds_load_2addr_b64 v[130:133], v120 offset0:74 offset1:130
	s_waitcnt lgkmcnt(0)
	v_mul_f32_e32 v121, v131, v181
	v_mul_f32_e32 v236, v130, v181
	s_delay_alu instid0(VALU_DEP_2) | instskip(NEXT) | instid1(VALU_DEP_2)
	v_fma_f32 v235, v130, v180, -v121
	v_fmac_f32_e32 v236, v131, v180
	s_clause 0x1
	global_load_b64 v[130:131], v[123:124], off offset:1360
	global_load_b64 v[123:124], v[123:124], off offset:2256
	s_waitcnt vmcnt(1)
	v_mul_f32_e32 v121, v133, v131
	v_mul_f32_e32 v181, v132, v131
	s_delay_alu instid0(VALU_DEP_2) | instskip(NEXT) | instid1(VALU_DEP_2)
	v_fma_f32 v180, v132, v130, -v121
	v_fmac_f32_e32 v181, v133, v130
	ds_load_2addr_b64 v[130:133], v134 offset0:180 offset1:236
	s_waitcnt lgkmcnt(0)
	v_mul_f32_e32 v121, v131, v238
	v_mul_f32_e32 v240, v130, v238
	s_delay_alu instid0(VALU_DEP_2) | instskip(NEXT) | instid1(VALU_DEP_2)
	v_fma_f32 v239, v130, v237, -v121
	v_fmac_f32_e32 v240, v131, v237
	global_load_b64 v[130:131], v[152:153], off offset:1184
	s_waitcnt vmcnt(0)
	v_mul_f32_e32 v121, v133, v131
	v_mul_f32_e32 v238, v132, v131
	s_delay_alu instid0(VALU_DEP_2) | instskip(NEXT) | instid1(VALU_DEP_2)
	v_fma_f32 v237, v132, v130, -v121
	v_fmac_f32_e32 v238, v133, v130
	ds_load_2addr_b64 v[130:133], v138 offset0:158 offset1:214
	s_waitcnt lgkmcnt(0)
	v_mul_f32_e32 v121, v131, v242
	v_mul_f32_e32 v244, v130, v242
	s_delay_alu instid0(VALU_DEP_2) | instskip(NEXT) | instid1(VALU_DEP_2)
	v_fma_f32 v243, v130, v241, -v121
	v_fmac_f32_e32 v244, v131, v241
	;; [unrolled: 14-line block ×3, first 2 shown]
	global_load_b64 v[130:131], v[118:119], off offset:3136
	s_waitcnt vmcnt(0)
	v_mul_f32_e32 v121, v133, v131
	v_mul_f32_e32 v246, v132, v131
	s_delay_alu instid0(VALU_DEP_2) | instskip(NEXT) | instid1(VALU_DEP_2)
	v_fma_f32 v245, v132, v130, -v121
	v_fmac_f32_e32 v246, v133, v130
	ds_load_2addr_b64 v[130:133], v142 offset0:58 offset1:114
	s_waitcnt lgkmcnt(0)
	v_mul_f32_e32 v121, v131, v248
	v_mul_f32_e32 v250, v130, v248
	;; [unrolled: 1-line block ×3, first 2 shown]
	s_delay_alu instid0(VALU_DEP_3) | instskip(NEXT) | instid1(VALU_DEP_3)
	v_fma_f32 v249, v130, v247, -v121
	v_dual_mul_f32 v121, v133, v124 :: v_dual_fmac_f32 v250, v131, v247
	s_delay_alu instid0(VALU_DEP_3) | instskip(NEXT) | instid1(VALU_DEP_2)
	v_fmac_f32_e32 v248, v133, v123
	v_fma_f32 v247, v132, v123, -v121
	global_load_b64 v[123:124], v[152:153], off offset:1632
	ds_load_2addr_b64 v[130:133], v143 offset0:36 offset1:92
	s_waitcnt vmcnt(0) lgkmcnt(0)
	v_mul_f32_e32 v121, v131, v124
	v_mul_f32_e32 v252, v130, v124
	s_delay_alu instid0(VALU_DEP_2) | instskip(NEXT) | instid1(VALU_DEP_2)
	v_fma_f32 v251, v130, v123, -v121
	v_fmac_f32_e32 v252, v131, v123
	global_load_b64 v[123:124], v[152:153], off offset:2080
	s_waitcnt vmcnt(0)
	v_mul_f32_e32 v121, v133, v124
	v_mul_f32_e32 v153, v132, v124
	s_delay_alu instid0(VALU_DEP_2) | instskip(NEXT) | instid1(VALU_DEP_2)
	v_fma_f32 v152, v132, v123, -v121
	v_fmac_f32_e32 v153, v133, v123
	global_load_b64 v[123:124], v[170:171], off offset:1456
	ds_load_2addr_b64 v[130:133], v145 offset0:14 offset1:70
	s_waitcnt vmcnt(0) lgkmcnt(0)
	v_mul_f32_e32 v121, v131, v124
	v_mul_f32_e32 v254, v130, v124
	s_delay_alu instid0(VALU_DEP_2) | instskip(NEXT) | instid1(VALU_DEP_2)
	v_fma_f32 v253, v130, v123, -v121
	v_fmac_f32_e32 v254, v131, v123
	global_load_b64 v[123:124], v[170:171], off offset:1904
	s_waitcnt vmcnt(0)
	v_mul_f32_e32 v121, v133, v124
	v_mul_f32_e32 v131, v132, v124
	s_delay_alu instid0(VALU_DEP_2)
	v_fma_f32 v130, v132, v123, -v121
	v_add_nc_u32_e32 v121, 0x2c00, v255
	ds_store_2addr_b64 v121, v[154:155], v[172:173] offset0:118 offset1:174
	ds_store_2addr_b64 v129, v[237:238], v[251:252] offset0:108 offset1:164
	v_add_nc_u32_e32 v121, 0x3400, v255
	v_fmac_f32_e32 v131, v133, v123
	ds_store_2addr_b64 v121, v[241:242], v[253:254] offset0:86 offset1:142
	ds_store_2addr_b64 v255, v[135:136], v[160:161] offset0:56 offset1:112
	ds_store_2addr_b64 v126, v[146:147], v[164:165] offset0:34 offset1:90
	ds_store_2addr_b64 v134, v[148:149], v[168:169] offset0:12 offset1:68
	ds_store_2addr_b64 v255, v[158:159], v[176:177] offset0:168 offset1:224
	ds_store_2addr_b64 v126, v[162:163], v[235:236] offset0:146 offset1:202
	ds_store_2addr_b64 v134, v[166:167], v[239:240] offset0:124 offset1:180
	ds_store_2addr_b64 v138, v[174:175], v[243:244] offset0:102 offset1:158
	ds_store_2addr_b64 v144, v[178:179], v[182:183] offset0:24 offset1:80
	ds_store_2addr_b64 v142, v[180:181], v[249:250] offset0:2 offset1:58
	ds_store_2addr_b64 v144, v[245:246], v[139:140] offset0:136 offset1:234
	ds_store_2addr_b64 v142, v[247:248], v[150:151] offset0:114 offset1:212
	ds_store_2addr_b64 v143, v[152:153], v[156:157] offset0:92 offset1:190
	ds_store_b64 v255, v[130:131] offset:14896
	s_and_saveexec_b32 s2, vcc_lo
	s_cbranch_execz .LBB0_13
; %bb.12:
	v_add_co_u32 v129, s1, 0x1000, v118
	s_delay_alu instid0(VALU_DEP_1) | instskip(SKIP_4) | instid1(VALU_DEP_1)
	v_add_co_ci_u32_e64 v130, s1, 0, v119, s1
	v_add_co_u32 v131, s1, 0x2000, v118
	global_load_b64 v[123:124], v[118:119], off offset:3584
	v_add_co_ci_u32_e64 v132, s1, 0, v119, s1
	v_add_co_u32 v118, s1, 0x3000, v118
	v_add_co_ci_u32_e64 v119, s1, 0, v119, s1
	s_clause 0x2
	global_load_b64 v[129:130], v[129:130], off offset:3408
	global_load_b64 v[131:132], v[131:132], off offset:3232
	global_load_b64 v[118:119], v[118:119], off offset:3056
	ds_load_b64 v[135:136], v255 offset:3584
	ds_load_b64 v[139:140], v255 offset:7504
	;; [unrolled: 1-line block ×4, first 2 shown]
	s_waitcnt vmcnt(3) lgkmcnt(3)
	v_mul_f32_e32 v121, v136, v124
	v_mul_f32_e32 v125, v135, v124
	s_delay_alu instid0(VALU_DEP_2)
	v_fma_f32 v124, v135, v123, -v121
	s_waitcnt vmcnt(2) lgkmcnt(2)
	v_mul_f32_e32 v121, v140, v130
	v_mul_f32_e32 v133, v139, v130
	s_waitcnt vmcnt(1) lgkmcnt(1)
	v_dual_fmac_f32 v125, v136, v123 :: v_dual_mul_f32 v130, v146, v132
	s_waitcnt vmcnt(0) lgkmcnt(0)
	v_dual_mul_f32 v136, v148, v119 :: v_dual_mul_f32 v123, v147, v132
	v_mul_f32_e32 v135, v149, v119
	v_fma_f32 v132, v139, v129, -v121
	s_delay_alu instid0(VALU_DEP_3) | instskip(NEXT) | instid1(VALU_DEP_4)
	v_dual_fmac_f32 v133, v140, v129 :: v_dual_fmac_f32 v136, v149, v118
	v_fma_f32 v129, v146, v131, -v123
	v_fmac_f32_e32 v130, v147, v131
	v_fma_f32 v135, v148, v118, -v135
	ds_store_b64 v255, v[124:125] offset:3584
	ds_store_b64 v255, v[132:133] offset:7504
	;; [unrolled: 1-line block ×4, first 2 shown]
.LBB0_13:
	s_or_b32 exec_lo, exec_lo, s2
	s_waitcnt lgkmcnt(0)
	s_barrier
	buffer_gl0_inv
	ds_load_2addr_b64 v[166:169], v122 offset0:106 offset1:162
	ds_load_2addr_b64 v[170:173], v128 offset0:84 offset1:140
	;; [unrolled: 1-line block ×14, first 2 shown]
	ds_load_2addr_b64 v[178:181], v255 offset1:56
	ds_load_2addr_b64 v[162:165], v255 offset0:112 offset1:168
	s_and_saveexec_b32 s1, vcc_lo
	s_cbranch_execz .LBB0_15
; %bb.14:
	ds_load_b64 v[230:231], v255 offset:3584
	ds_load_b64 v[116:117], v255 offset:7504
	;; [unrolled: 1-line block ×4, first 2 shown]
.LBB0_15:
	s_or_b32 exec_lo, exec_lo, s1
	s_waitcnt lgkmcnt(1)
	v_dual_sub_f32 v170, v178, v170 :: v_dual_sub_f32 v171, v179, v171
	v_dual_sub_f32 v174, v166, v174 :: v_dual_sub_f32 v173, v181, v173
	s_waitcnt lgkmcnt(0)
	v_dual_sub_f32 v154, v162, v154 :: v_dual_sub_f32 v159, v151, v159
	s_delay_alu instid0(VALU_DEP_3) | instskip(NEXT) | instid1(VALU_DEP_3)
	v_fma_f32 v178, v178, 2.0, -v170
	v_fma_f32 v166, v166, 2.0, -v174
	v_sub_f32_e32 v238, v171, v174
	s_delay_alu instid0(VALU_DEP_4) | instskip(SKIP_1) | instid1(VALU_DEP_3)
	v_fma_f32 v151, v151, 2.0, -v159
	s_barrier
	v_dual_sub_f32 v235, v178, v166 :: v_dual_sub_f32 v166, v167, v175
	s_delay_alu instid0(VALU_DEP_3) | instskip(SKIP_2) | instid1(VALU_DEP_4)
	v_fma_f32 v242, v171, 2.0, -v238
	v_sub_f32_e32 v172, v180, v172
	v_fma_f32 v175, v181, 2.0, -v173
	v_fma_f32 v239, v178, 2.0, -v235
	v_add_f32_e32 v237, v170, v166
	v_fma_f32 v166, v167, 2.0, -v166
	v_fma_f32 v167, v179, 2.0, -v171
	v_sub_f32_e32 v171, v169, v177
	v_sub_f32_e32 v157, v165, v157
	v_fma_f32 v241, v170, 2.0, -v237
	v_fma_f32 v174, v180, 2.0, -v172
	v_sub_f32_e32 v236, v167, v166
	buffer_gl0_inv
	v_fma_f32 v162, v162, 2.0, -v154
	v_dual_sub_f32 v138, v130, v138 :: v_dual_sub_f32 v155, v163, v155
	v_fma_f32 v240, v167, 2.0, -v236
	v_fma_f32 v167, v169, 2.0, -v171
	v_sub_f32_e32 v170, v168, v176
	ds_store_b128 v193, v[235:238] offset:16
	ds_store_b128 v193, v[239:242]
	v_fma_f32 v163, v163, 2.0, -v155
	v_sub_f32_e32 v167, v175, v167
	v_fma_f32 v166, v168, 2.0, -v170
	v_dual_add_f32 v168, v172, v171 :: v_dual_sub_f32 v169, v173, v170
	v_sub_f32_e32 v158, v150, v158
	s_delay_alu instid0(VALU_DEP_4) | instskip(NEXT) | instid1(VALU_DEP_4)
	v_fma_f32 v171, v175, 2.0, -v167
	v_sub_f32_e32 v166, v174, v166
	s_delay_alu instid0(VALU_DEP_4)
	v_fma_f32 v172, v172, 2.0, -v168
	v_fma_f32 v173, v173, 2.0, -v169
	v_sub_f32_e32 v135, v127, v135
	v_sub_f32_e32 v139, v131, v139
	v_fma_f32 v170, v174, 2.0, -v166
	ds_store_b128 v192, v[170:173]
	ds_store_b128 v192, v[166:169] offset:16
	v_sub_f32_e32 v167, v163, v151
	v_fma_f32 v150, v150, 2.0, -v158
	v_dual_add_f32 v168, v154, v159 :: v_dual_sub_f32 v169, v155, v158
	v_fma_f32 v159, v165, 2.0, -v157
	s_delay_alu instid0(VALU_DEP_4) | instskip(NEXT) | instid1(VALU_DEP_4)
	v_fma_f32 v171, v163, 2.0, -v167
	v_sub_f32_e32 v166, v162, v150
	s_delay_alu instid0(VALU_DEP_4) | instskip(SKIP_2) | instid1(VALU_DEP_4)
	v_fma_f32 v172, v154, 2.0, -v168
	v_fma_f32 v173, v155, 2.0, -v169
	v_dual_sub_f32 v155, v153, v161 :: v_dual_sub_f32 v154, v152, v160
	v_fma_f32 v170, v162, 2.0, -v166
	v_fma_f32 v127, v127, 2.0, -v135
	ds_store_b128 v191, v[170:173]
	ds_store_b128 v191, v[166:169] offset:16
	v_fma_f32 v151, v153, 2.0, -v155
	v_sub_f32_e32 v156, v164, v156
	v_fma_f32 v150, v152, 2.0, -v154
	v_sub_f32_e32 v153, v157, v154
	v_fma_f32 v131, v131, 2.0, -v139
	v_sub_f32_e32 v151, v159, v151
	v_fma_f32 v158, v164, 2.0, -v156
	v_add_f32_e32 v152, v156, v155
	v_fma_f32 v157, v157, 2.0, -v153
	v_sub_f32_e32 v134, v126, v134
	v_fma_f32 v155, v159, 2.0, -v151
	v_sub_f32_e32 v150, v158, v150
	v_fma_f32 v156, v156, 2.0, -v152
	s_delay_alu instid0(VALU_DEP_2)
	v_fma_f32 v154, v158, 2.0, -v150
	ds_store_b128 v190, v[154:157]
	ds_store_b128 v190, v[150:153] offset:16
	v_sub_f32_e32 v151, v127, v131
	v_fma_f32 v126, v126, 2.0, -v134
	v_sub_f32_e32 v131, v129, v137
	v_fma_f32 v130, v130, 2.0, -v138
	v_dual_add_f32 v152, v134, v139 :: v_dual_sub_f32 v153, v135, v138
	v_fma_f32 v155, v127, 2.0, -v151
	s_delay_alu instid0(VALU_DEP_3) | instskip(NEXT) | instid1(VALU_DEP_3)
	v_dual_sub_f32 v127, v132, v140 :: v_dual_sub_f32 v150, v126, v130
	v_fma_f32 v156, v134, 2.0, -v152
	s_delay_alu instid0(VALU_DEP_4) | instskip(SKIP_1) | instid1(VALU_DEP_4)
	v_fma_f32 v157, v135, 2.0, -v153
	v_dual_sub_f32 v130, v128, v136 :: v_dual_sub_f32 v139, v123, v147
	v_fma_f32 v154, v126, 2.0, -v150
	v_dual_sub_f32 v126, v133, v141 :: v_dual_sub_f32 v135, v118, v142
	v_dual_sub_f32 v138, v122, v146 :: v_dual_sub_f32 v147, v125, v149
	v_dual_sub_f32 v134, v119, v143 :: v_dual_sub_f32 v143, v120, v144
	v_fma_f32 v128, v128, 2.0, -v130
	v_fma_f32 v129, v129, 2.0, -v131
	;; [unrolled: 1-line block ×4, first 2 shown]
	v_sub_f32_e32 v146, v124, v148
	v_dual_sub_f32 v142, v121, v145 :: v_dual_sub_f32 v127, v131, v127
	v_fma_f32 v122, v122, 2.0, -v138
	v_fma_f32 v123, v123, 2.0, -v139
	;; [unrolled: 1-line block ×7, first 2 shown]
	v_sub_f32_e32 v125, v129, v133
	v_fma_f32 v144, v124, 2.0, -v146
	v_dual_sub_f32 v124, v128, v132 :: v_dual_sub_f32 v133, v123, v119
	s_delay_alu instid0(VALU_DEP_4) | instskip(SKIP_1) | instid1(VALU_DEP_3)
	v_dual_sub_f32 v132, v122, v118 :: v_dual_sub_f32 v141, v145, v121
	v_dual_add_f32 v126, v130, v126 :: v_dual_sub_f32 v135, v139, v135
	v_fma_f32 v137, v123, 2.0, -v133
	s_delay_alu instid0(VALU_DEP_3)
	v_fma_f32 v136, v122, 2.0, -v132
	v_dual_sub_f32 v140, v144, v120 :: v_dual_sub_f32 v121, v231, v233
	v_dual_add_f32 v142, v146, v142 :: v_dual_sub_f32 v123, v117, v229
	v_sub_f32_e32 v122, v116, v228
	v_sub_f32_e32 v120, v230, v232
	v_dual_add_f32 v134, v138, v134 :: v_dual_sub_f32 v143, v147, v143
	v_fma_f32 v128, v128, 2.0, -v124
	v_fma_f32 v129, v129, 2.0, -v125
	;; [unrolled: 1-line block ×4, first 2 shown]
	v_dual_sub_f32 v119, v121, v122 :: v_dual_add_f32 v118, v123, v120
	v_fma_f32 v138, v138, 2.0, -v134
	v_fma_f32 v139, v139, 2.0, -v135
	;; [unrolled: 1-line block ×6, first 2 shown]
	ds_store_b128 v189, v[154:157]
	ds_store_b128 v189, v[150:153] offset:16
	ds_store_b128 v186, v[128:131]
	ds_store_b128 v186, v[124:127] offset:16
	;; [unrolled: 2-line block ×4, first 2 shown]
	s_and_saveexec_b32 s1, vcc_lo
	s_cbranch_execz .LBB0_17
; %bb.16:
	v_fma_f32 v124, v231, 2.0, -v121
	v_fma_f32 v117, v117, 2.0, -v123
	;; [unrolled: 1-line block ×6, first 2 shown]
	s_delay_alu instid0(VALU_DEP_3) | instskip(NEXT) | instid1(VALU_DEP_1)
	v_dual_sub_f32 v117, v124, v117 :: v_dual_sub_f32 v116, v125, v116
	v_fma_f32 v121, v124, 2.0, -v117
	s_delay_alu instid0(VALU_DEP_2)
	v_fma_f32 v120, v125, 2.0, -v116
	ds_store_b128 v185, v[120:123]
	ds_store_b128 v185, v[116:119] offset:16
.LBB0_17:
	s_or_b32 exec_lo, exec_lo, s1
	v_add_nc_u32_e32 v136, 0x3000, v255
	s_waitcnt lgkmcnt(0)
	s_barrier
	buffer_gl0_inv
	ds_load_2addr_b64 v[121:124], v136 offset0:144 offset1:200
	s_waitcnt lgkmcnt(0)
	v_dual_mul_f32 v153, v15, v122 :: v_dual_add_nc_u32 v120, 0x2800, v255
	s_delay_alu instid0(VALU_DEP_1)
	v_fmac_f32_e32 v153, v14, v121
	ds_load_2addr_b64 v[125:128], v120 offset0:176 offset1:232
	v_add_nc_u32_e32 v116, 0x3800, v255
	v_mul_f32_e32 v117, v15, v123
	ds_load_2addr_b64 v[145:148], v120 offset0:64 offset1:120
	s_waitcnt lgkmcnt(1)
	v_mul_f32_e32 v142, v13, v126
	v_mul_f32_e32 v129, v13, v128
	ds_load_2addr_b64 v[138:141], v116 offset1:56
	v_mul_f32_e32 v116, v15, v121
	v_fma_f32 v143, v14, v124, -v117
	v_dual_mul_f32 v117, v13, v127 :: v_dual_mul_f32 v134, v15, v124
	v_fmac_f32_e32 v129, v12, v127
	s_delay_alu instid0(VALU_DEP_4) | instskip(SKIP_1) | instid1(VALU_DEP_4)
	v_fma_f32 v158, v14, v122, -v116
	v_mul_f32_e32 v116, v13, v125
	v_fma_f32 v130, v12, v128, -v117
	s_waitcnt lgkmcnt(1)
	v_dual_fmac_f32 v134, v14, v123 :: v_dual_mul_f32 v167, v13, v148
	s_delay_alu instid0(VALU_DEP_1)
	v_fmac_f32_e32 v167, v12, v147
	s_waitcnt lgkmcnt(0)
	v_mul_f32_e32 v117, v15, v140
	v_dual_mul_f32 v131, v15, v139 :: v_dual_fmac_f32 v142, v12, v125
	v_fma_f32 v144, v12, v126, -v116
	ds_load_2addr_b64 v[125:128], v136 offset0:32 offset1:88
	v_mul_f32_e32 v116, v15, v138
	v_fma_f32 v123, v14, v141, -v117
	v_fmac_f32_e32 v131, v14, v138
	s_waitcnt lgkmcnt(0)
	v_mul_f32_e32 v117, v13, v127
	v_mul_f32_e32 v124, v13, v126
	v_fma_f32 v139, v14, v139, -v116
	v_mul_f32_e32 v116, v13, v125
	s_delay_alu instid0(VALU_DEP_4) | instskip(NEXT) | instid1(VALU_DEP_4)
	v_fma_f32 v117, v12, v128, -v117
	v_fmac_f32_e32 v124, v12, v125
	s_delay_alu instid0(VALU_DEP_3) | instskip(SKIP_2) | instid1(VALU_DEP_1)
	v_fma_f32 v125, v12, v126, -v116
	v_mul_f32_e32 v116, v13, v128
	v_dual_mul_f32 v13, v13, v147 :: v_dual_mul_f32 v128, v7, v146
	v_fma_f32 v168, v12, v148, -v13
	v_add_nc_u32_e32 v13, 0x2000, v255
	ds_load_2addr_b64 v[147:150], v13 offset0:96 offset1:152
	v_fmac_f32_e32 v116, v12, v127
	ds_load_b64 v[126:127], v255 offset:15232
	s_waitcnt lgkmcnt(1)
	v_mul_f32_e32 v169, v7, v148
	v_mul_f32_e32 v159, v7, v150
	v_mul_f32_e32 v12, v7, v147
	s_waitcnt lgkmcnt(0)
	v_mul_f32_e32 v121, v15, v127
	v_mul_f32_e32 v122, v15, v141
	;; [unrolled: 1-line block ×3, first 2 shown]
	v_fmac_f32_e32 v159, v6, v149
	v_fma_f32 v170, v6, v148, -v12
	v_dual_fmac_f32 v121, v14, v126 :: v_dual_mul_f32 v12, v7, v149
	v_fmac_f32_e32 v122, v14, v140
	v_fma_f32 v15, v14, v127, -v15
	s_delay_alu instid0(VALU_DEP_3)
	v_fma_f32 v160, v6, v150, -v12
	v_add_nc_u32_e32 v12, 0x1800, v255
	ds_load_2addr_b64 v[148:151], v12 offset0:128 offset1:184
	v_fmac_f32_e32 v169, v6, v147
	ds_load_2addr_b64 v[171:174], v12 offset0:16 offset1:72
	v_fmac_f32_e32 v128, v6, v145
	s_waitcnt lgkmcnt(1)
	v_mul_f32_e32 v14, v5, v148
	v_mul_f32_e32 v161, v5, v149
	s_waitcnt lgkmcnt(0)
	v_mul_f32_e32 v181, v5, v174
	s_delay_alu instid0(VALU_DEP_3) | instskip(SKIP_1) | instid1(VALU_DEP_3)
	v_fma_f32 v162, v4, v149, -v14
	v_mul_f32_e32 v149, v5, v151
	v_dual_mul_f32 v14, v5, v150 :: v_dual_fmac_f32 v181, v4, v173
	s_delay_alu instid0(VALU_DEP_2) | instskip(NEXT) | instid1(VALU_DEP_2)
	v_dual_add_f32 v244, v162, v160 :: v_dual_fmac_f32 v149, v4, v150
	v_fma_f32 v150, v4, v151, -v14
	v_add_nc_u32_e32 v14, 0x2400, v255
	ds_load_2addr_b64 v[154:157], v14 offset0:80 offset1:136
	s_waitcnt lgkmcnt(0)
	v_dual_fmac_f32 v161, v4, v148 :: v_dual_mul_f32 v126, v7, v154
	v_mul_f32_e32 v151, v7, v155
	s_delay_alu instid0(VALU_DEP_2) | instskip(NEXT) | instid1(VALU_DEP_3)
	v_dual_mul_f32 v135, v7, v157 :: v_dual_add_f32 v240, v161, v159
	v_fma_f32 v152, v6, v155, -v126
	s_delay_alu instid0(VALU_DEP_3) | instskip(NEXT) | instid1(VALU_DEP_3)
	v_dual_mul_f32 v126, v7, v156 :: v_dual_fmac_f32 v151, v6, v154
	v_fmac_f32_e32 v135, v6, v156
	s_delay_alu instid0(VALU_DEP_3) | instskip(NEXT) | instid1(VALU_DEP_3)
	v_dual_mul_f32 v7, v7, v145 :: v_dual_add_f32 v252, v150, v152
	v_fma_f32 v138, v6, v157, -v126
	v_add_nc_u32_e32 v126, 0x1c00, v255
	s_delay_alu instid0(VALU_DEP_3)
	v_fma_f32 v6, v6, v146, -v7
	ds_load_2addr_b64 v[154:157], v126 offset0:112 offset1:168
	s_waitcnt lgkmcnt(0)
	v_mul_f32_e32 v126, v5, v154
	v_mul_f32_e32 v127, v5, v156
	v_dual_mul_f32 v140, v5, v155 :: v_dual_mul_f32 v133, v3, v172
	v_add_f32_e32 v248, v149, v151
	s_delay_alu instid0(VALU_DEP_4) | instskip(SKIP_1) | instid1(VALU_DEP_4)
	v_fma_f32 v141, v4, v155, -v126
	v_mul_f32_e32 v126, v5, v157
	v_dual_mul_f32 v5, v5, v173 :: v_dual_fmac_f32 v140, v4, v154
	v_fma_f32 v127, v4, v157, -v127
	s_delay_alu instid0(VALU_DEP_3) | instskip(NEXT) | instid1(VALU_DEP_3)
	v_dual_add_f32 v189, v141, v138 :: v_dual_fmac_f32 v126, v4, v156
	v_fma_f32 v182, v4, v174, -v5
	v_dual_add_f32 v231, v181, v169 :: v_dual_add_nc_u32 v4, 0x1000, v255
	v_add_f32_e32 v191, v140, v135
	v_add_f32_e32 v195, v127, v6
	s_delay_alu instid0(VALU_DEP_4)
	v_add_f32_e32 v236, v182, v170
	ds_load_2addr_b64 v[145:148], v4 offset0:48 offset1:104
	s_waitcnt lgkmcnt(0)
	v_mul_f32_e32 v5, v3, v145
	v_mul_f32_e32 v183, v3, v146
	;; [unrolled: 1-line block ×3, first 2 shown]
	s_delay_alu instid0(VALU_DEP_3) | instskip(SKIP_1) | instid1(VALU_DEP_4)
	v_fma_f32 v228, v2, v146, -v5
	v_mul_f32_e32 v5, v3, v147
	v_fmac_f32_e32 v183, v2, v145
	s_delay_alu instid0(VALU_DEP_4) | instskip(NEXT) | instid1(VALU_DEP_4)
	v_fmac_f32_e32 v163, v2, v147
	v_add_f32_e32 v235, v228, v168
	s_delay_alu instid0(VALU_DEP_4) | instskip(SKIP_1) | instid1(VALU_DEP_2)
	v_fma_f32 v164, v2, v148, -v5
	v_add_nc_u32_e32 v5, 0x800, v255
	v_add_f32_e32 v243, v164, v144
	ds_load_2addr_b64 v[145:148], v5 offset0:80 offset1:136
	ds_load_2addr_b64 v[173:176], v5 offset0:192 offset1:248
	s_waitcnt lgkmcnt(1)
	v_dual_sub_f32 v144, v164, v144 :: v_dual_mul_f32 v7, v1, v145
	v_mul_f32_e32 v165, v1, v146
	v_mul_f32_e32 v154, v1, v148
	v_add_f32_e32 v230, v183, v167
	s_waitcnt lgkmcnt(0)
	v_mul_f32_e32 v132, v1, v175
	v_fma_f32 v166, v0, v146, -v7
	v_mul_f32_e32 v7, v1, v147
	v_fmac_f32_e32 v165, v0, v145
	v_fmac_f32_e32 v154, v0, v147
	v_fma_f32 v132, v0, v176, -v132
	v_add_f32_e32 v242, v166, v143
	v_fma_f32 v155, v0, v148, -v7
	ds_load_2addr_b64 v[145:148], v4 offset0:160 offset1:216
	v_add_f32_e32 v238, v165, v134
	v_add_f32_e32 v246, v154, v131
	;; [unrolled: 1-line block ×4, first 2 shown]
	v_dual_sub_f32 v134, v165, v134 :: v_dual_sub_f32 v143, v166, v143
	v_sub_f32_e32 v15, v132, v15
	s_waitcnt lgkmcnt(0)
	v_mul_f32_e32 v7, v3, v145
	v_mul_f32_e32 v156, v3, v146
	s_delay_alu instid0(VALU_DEP_2) | instskip(NEXT) | instid1(VALU_DEP_2)
	v_fma_f32 v157, v2, v146, -v7
	v_dual_mul_f32 v7, v3, v147 :: v_dual_fmac_f32 v156, v2, v145
	v_mul_f32_e32 v145, v3, v148
	s_delay_alu instid0(VALU_DEP_2) | instskip(SKIP_1) | instid1(VALU_DEP_3)
	v_fma_f32 v146, v2, v148, -v7
	v_mul_f32_e32 v3, v3, v171
	v_fmac_f32_e32 v145, v2, v147
	v_mul_f32_e32 v147, v1, v174
	v_mul_f32_e32 v7, v1, v173
	v_fmac_f32_e32 v133, v2, v171
	v_add_f32_e32 v188, v146, v125
	v_fma_f32 v3, v2, v172, -v3
	v_dual_fmac_f32 v147, v0, v173 :: v_dual_add_nc_u32 v2, 0x400, v255
	v_fma_f32 v148, v0, v174, -v7
	s_delay_alu instid0(VALU_DEP_3)
	v_dual_mul_f32 v7, v1, v176 :: v_dual_add_f32 v194, v3, v117
	ds_load_2addr_b64 v[171:174], v2 offset0:96 offset1:152
	v_dual_add_f32 v254, v147, v122 :: v_dual_add_f32 v185, v148, v123
	v_dual_fmac_f32 v7, v0, v175 :: v_dual_add_f32 v196, v194, v234
	v_sub_f32_e32 v125, v146, v125
	v_sub_f32_e32 v123, v148, v123
	;; [unrolled: 1-line block ×3, first 2 shown]
	s_delay_alu instid0(VALU_DEP_4) | instskip(SKIP_2) | instid1(VALU_DEP_3)
	v_dual_sub_f32 v117, v6, v127 :: v_dual_add_f32 v196, v195, v196
	v_add_f32_e32 v239, v163, v142
	v_sub_f32_e32 v142, v163, v142
	v_dual_sub_f32 v122, v147, v122 :: v_dual_sub_f32 v127, v117, v3
	s_waitcnt lgkmcnt(0)
	v_dual_add_f32 v172, v172, v196 :: v_dual_mul_f32 v229, v1, v174
	v_mul_f32_e32 v1, v1, v173
	s_delay_alu instid0(VALU_DEP_2) | instskip(NEXT) | instid1(VALU_DEP_2)
	v_fmac_f32_e32 v229, v0, v173
	v_fma_f32 v1, v0, v174, -v1
	s_delay_alu instid0(VALU_DEP_2) | instskip(NEXT) | instid1(VALU_DEP_2)
	v_add_f32_e32 v0, v229, v153
	v_add_f32_e32 v233, v1, v158
	v_dual_sub_f32 v1, v1, v158 :: v_dual_sub_f32 v158, v183, v167
	v_sub_f32_e32 v183, v228, v168
	s_delay_alu instid0(VALU_DEP_4) | instskip(SKIP_2) | instid1(VALU_DEP_3)
	v_add_f32_e32 v173, v230, v0
	v_dual_sub_f32 v168, v170, v182 :: v_dual_sub_f32 v167, v169, v181
	v_dual_sub_f32 v169, v0, v231 :: v_dual_sub_f32 v170, v231, v230
	v_add_f32_e32 v232, v231, v173
	v_add_f32_e32 v173, v235, v233
	s_delay_alu instid0(VALU_DEP_4) | instskip(SKIP_2) | instid1(VALU_DEP_4)
	v_dual_sub_f32 v228, v167, v158 :: v_dual_sub_f32 v231, v168, v183
	v_add_f32_e32 v197, v167, v158
	v_mul_f32_e32 v169, 0x3f4a47b2, v169
	v_add_f32_e32 v237, v236, v173
	v_add_f32_e32 v173, v239, v238
	v_dual_mul_f32 v199, 0x3f08b237, v228 :: v_dual_mul_f32 v228, 0x3f08b237, v231
	s_delay_alu instid0(VALU_DEP_2) | instskip(SKIP_1) | instid1(VALU_DEP_1)
	v_dual_sub_f32 v0, v230, v0 :: v_dual_add_f32 v241, v240, v173
	v_add_f32_e32 v173, v243, v242
	v_add_f32_e32 v245, v244, v173
	ds_load_2addr_b64 v[173:176], v255 offset1:56
	s_waitcnt lgkmcnt(0)
	v_dual_add_f32 v177, v173, v232 :: v_dual_add_f32 v178, v174, v237
	v_add_f32_e32 v180, v176, v245
	v_dual_add_f32 v247, v156, v129 :: v_dual_add_f32 v190, v145, v124
	v_add_f32_e32 v192, v133, v116
	v_sub_f32_e32 v153, v229, v153
	v_add_f32_e32 v179, v175, v241
	v_dual_fmamk_f32 v231, v232, 0xbf955555, v177 :: v_dual_fmamk_f32 v232, v237, 0xbf955555, v178
	v_sub_f32_e32 v129, v156, v129
	s_delay_alu instid0(VALU_DEP_4) | instskip(SKIP_4) | instid1(VALU_DEP_4)
	v_sub_f32_e32 v229, v153, v167
	v_add_f32_e32 v173, v247, v246
	v_add_f32_e32 v167, v168, v183
	;; [unrolled: 1-line block ×4, first 2 shown]
	v_dual_fmamk_f32 v202, v229, 0xbeae86e6, v199 :: v_dual_add_f32 v249, v248, v173
	s_delay_alu instid0(VALU_DEP_4) | instskip(NEXT) | instid1(VALU_DEP_4)
	v_add_f32_e32 v198, v167, v1
	v_add_f32_e32 v173, v251, v250
	v_sub_f32_e32 v153, v158, v153
	s_delay_alu instid0(VALU_DEP_4) | instskip(SKIP_1) | instid1(VALU_DEP_4)
	v_fmac_f32_e32 v202, 0xbee1c552, v197
	v_dual_mul_f32 v158, 0x3d64c772, v170 :: v_dual_fmamk_f32 v167, v170, 0x3d64c772, v169
	v_dual_add_f32 v253, v252, v173 :: v_dual_sub_f32 v130, v157, v130
	v_sub_f32_e32 v124, v145, v124
	s_delay_alu instid0(VALU_DEP_3)
	v_fma_f32 v158, 0x3f3bfb3b, v0, -v158
	v_fma_f32 v0, 0xbf3bfb3b, v0, -v169
	v_add_f32_e32 v173, v190, v254
	v_add_f32_e32 v237, v167, v231
	v_fma_f32 v169, 0xbf5ff5aa, v153, -v199
	v_dual_add_f32 v158, v158, v231 :: v_dual_mul_f32 v153, 0xbf5ff5aa, v153
	s_delay_alu instid0(VALU_DEP_4) | instskip(SKIP_1) | instid1(VALU_DEP_4)
	v_add_f32_e32 v184, v191, v173
	v_add_f32_e32 v173, v188, v185
	v_fmac_f32_e32 v169, 0xbee1c552, v197
	s_delay_alu instid0(VALU_DEP_4) | instskip(NEXT) | instid1(VALU_DEP_3)
	v_fma_f32 v153, 0x3eae86e6, v229, -v153
	v_add_f32_e32 v186, v189, v173
	ds_load_2addr_b64 v[173:176], v255 offset0:112 offset1:168
	s_waitcnt lgkmcnt(0)
	s_barrier
	buffer_gl0_inv
	scratch_load_b32 v203, off, off offset:360 ; 4-byte Folded Reload
	v_dual_sub_f32 v182, v236, v235 :: v_dual_fmac_f32 v153, 0xbee1c552, v197
	v_dual_add_f32 v174, v174, v253 :: v_dual_sub_f32 v181, v233, v236
	v_dual_sub_f32 v236, v1, v168 :: v_dual_sub_f32 v1, v183, v1
	s_delay_alu instid0(VALU_DEP_2) | instskip(NEXT) | instid1(VALU_DEP_3)
	v_dual_sub_f32 v131, v154, v131 :: v_dual_fmamk_f32 v156, v253, 0xbf955555, v174
	v_mul_f32_e32 v181, 0x3f4a47b2, v181
	s_delay_alu instid0(VALU_DEP_3) | instskip(NEXT) | instid1(VALU_DEP_4)
	v_fmamk_f32 v201, v236, 0xbeae86e6, v228
	v_fma_f32 v170, 0xbf5ff5aa, v1, -v228
	v_mul_f32_e32 v1, 0xbf5ff5aa, v1
	v_add_f32_e32 v175, v175, v184
	v_fmamk_f32 v167, v182, 0x3d64c772, v181
	v_fmac_f32_e32 v201, 0xbee1c552, v198
	v_fmac_f32_e32 v170, 0xbee1c552, v198
	v_add_f32_e32 v176, v176, v186
	s_delay_alu instid0(VALU_DEP_4) | instskip(NEXT) | instid1(VALU_DEP_1)
	v_dual_add_f32 v200, v167, v232 :: v_dual_add_f32 v173, v173, v249
	v_dual_add_f32 v167, v201, v237 :: v_dual_sub_f32 v168, v200, v202
	s_waitcnt vmcnt(0)
	ds_store_2addr_b64 v203, v[177:178], v[167:168] offset1:4
	v_dual_sub_f32 v167, v235, v233 :: v_dual_mul_f32 v168, 0x3d64c772, v182
	v_fma_f32 v177, 0x3eae86e6, v236, -v1
	v_add_f32_e32 v178, v0, v231
	s_delay_alu instid0(VALU_DEP_3) | instskip(SKIP_1) | instid1(VALU_DEP_4)
	v_fma_f32 v168, 0x3f3bfb3b, v167, -v168
	v_fma_f32 v167, 0xbf3bfb3b, v167, -v181
	v_fmac_f32_e32 v177, 0xbee1c552, v198
	v_add_f32_e32 v187, v7, v121
	v_sub_f32_e32 v121, v7, v121
	v_add_f32_e32 v181, v168, v232
	v_add_f32_e32 v182, v167, v232
	v_dual_add_f32 v193, v126, v128 :: v_dual_add_f32 v0, v177, v178
	s_delay_alu instid0(VALU_DEP_3) | instskip(NEXT) | instid1(VALU_DEP_3)
	v_dual_sub_f32 v167, v158, v170 :: v_dual_add_f32 v168, v169, v181
	v_sub_f32_e32 v1, v182, v153
	v_add_f32_e32 v137, v192, v187
	v_sub_f32_e32 v7, v133, v116
	v_dual_sub_f32 v133, v193, v192 :: v_dual_sub_f32 v116, v128, v126
	ds_store_2addr_b64 v203, v[0:1], v[167:168] offset0:8 offset1:12
	v_sub_f32_e32 v1, v181, v169
	scratch_load_b32 v181, off, off offset:356 ; 4-byte Folded Reload
	v_dual_add_f32 v0, v170, v158 :: v_dual_add_f32 v137, v193, v137
	v_dual_sub_f32 v167, v178, v177 :: v_dual_add_f32 v168, v153, v182
	v_dual_sub_f32 v153, v238, v240 :: v_dual_sub_f32 v158, v240, v239
	s_delay_alu instid0(VALU_DEP_3)
	v_dual_add_f32 v171, v171, v137 :: v_dual_sub_f32 v128, v192, v187
	ds_store_2addr_b64 v203, v[0:1], v[167:168] offset0:16 offset1:20
	v_dual_sub_f32 v0, v237, v201 :: v_dual_add_f32 v1, v202, v200
	v_mul_f32_e32 v153, 0x3f4a47b2, v153
	v_fmamk_f32 v167, v241, 0xbf955555, v179
	v_fmamk_f32 v168, v245, 0xbf955555, v180
	;; [unrolled: 1-line block ×3, first 2 shown]
	ds_store_b64 v203, v[0:1] offset:192
	v_dual_sub_f32 v0, v159, v161 :: v_dual_sub_f32 v1, v160, v162
	v_dual_sub_f32 v159, v242, v244 :: v_dual_sub_f32 v160, v244, v243
	v_add_f32_e32 v6, v116, v7
	s_delay_alu instid0(VALU_DEP_3) | instskip(SKIP_4) | instid1(VALU_DEP_4)
	v_add_f32_e32 v161, v0, v142
	v_dual_sub_f32 v162, v0, v142 :: v_dual_sub_f32 v163, v134, v0
	v_add_f32_e32 v0, v1, v144
	v_dual_sub_f32 v164, v1, v144 :: v_dual_sub_f32 v165, v143, v1
	v_mul_f32_e32 v159, 0x3f4a47b2, v159
	v_mul_f32_e32 v162, 0x3f08b237, v162
	s_delay_alu instid0(VALU_DEP_4) | instskip(NEXT) | instid1(VALU_DEP_4)
	v_add_f32_e32 v166, v0, v143
	v_mul_f32_e32 v164, 0x3f08b237, v164
	v_dual_fmamk_f32 v0, v158, 0x3d64c772, v153 :: v_dual_add_f32 v161, v161, v134
	s_delay_alu instid0(VALU_DEP_4) | instskip(NEXT) | instid1(VALU_DEP_3)
	v_fmamk_f32 v178, v163, 0xbeae86e6, v162
	v_dual_sub_f32 v134, v142, v134 :: v_dual_fmamk_f32 v177, v165, 0xbeae86e6, v164
	s_delay_alu instid0(VALU_DEP_3) | instskip(SKIP_1) | instid1(VALU_DEP_4)
	v_add_f32_e32 v169, v0, v167
	v_fmamk_f32 v0, v160, 0x3d64c772, v159
	v_fmac_f32_e32 v178, 0xbee1c552, v161
	s_delay_alu instid0(VALU_DEP_4) | instskip(NEXT) | instid1(VALU_DEP_3)
	v_dual_sub_f32 v142, v144, v143 :: v_dual_fmac_f32 v177, 0xbee1c552, v166
	v_dual_mul_f32 v143, 0x3d64c772, v158 :: v_dual_add_f32 v170, v0, v168
	v_mul_f32_e32 v144, 0x3d64c772, v160
	s_delay_alu instid0(VALU_DEP_3) | instskip(NEXT) | instid1(VALU_DEP_4)
	v_fma_f32 v158, 0xbf5ff5aa, v142, -v164
	v_add_f32_e32 v0, v177, v169
	v_mul_f32_e32 v142, 0xbf5ff5aa, v142
	v_dual_sub_f32 v1, v170, v178 :: v_dual_sub_f32 v126, v116, v7
	s_delay_alu instid0(VALU_DEP_4)
	v_fmac_f32_e32 v158, 0xbee1c552, v166
	v_dual_sub_f32 v132, v7, v121 :: v_dual_add_f32 v7, v117, v3
	v_dual_sub_f32 v3, v3, v15 :: v_dual_sub_f32 v116, v121, v116
	s_waitcnt vmcnt(0)
	ds_store_2addr_b64 v181, v[179:180], v[0:1] offset1:4
	v_sub_f32_e32 v0, v239, v238
	v_sub_f32_e32 v1, v243, v242
	s_delay_alu instid0(VALU_DEP_2)
	v_fma_f32 v143, 0x3f3bfb3b, v0, -v143
	v_fma_f32 v0, 0xbf3bfb3b, v0, -v153
	;; [unrolled: 1-line block ×3, first 2 shown]
	v_mul_f32_e32 v134, 0xbf5ff5aa, v134
	v_fma_f32 v144, 0x3f3bfb3b, v1, -v144
	v_fma_f32 v1, 0xbf3bfb3b, v1, -v159
	;; [unrolled: 1-line block ×3, first 2 shown]
	v_fmac_f32_e32 v153, 0xbee1c552, v161
	v_fma_f32 v134, 0x3eae86e6, v163, -v134
	v_add_f32_e32 v160, v143, v167
	v_add_f32_e32 v162, v0, v167
	;; [unrolled: 1-line block ×3, first 2 shown]
	s_delay_alu instid0(VALU_DEP_4) | instskip(SKIP_4) | instid1(VALU_DEP_3)
	v_dual_add_f32 v163, v1, v168 :: v_dual_fmac_f32 v134, 0xbee1c552, v161
	scratch_load_b32 v161, off, off offset:344 ; 4-byte Folded Reload
	v_fmac_f32_e32 v159, 0xbee1c552, v166
	v_dual_sub_f32 v142, v160, v158 :: v_dual_add_f32 v143, v153, v144
	v_sub_f32_e32 v1, v163, v134
	v_add_f32_e32 v0, v159, v162
	ds_store_2addr_b64 v181, v[0:1], v[142:143] offset0:8 offset1:12
	v_dual_add_f32 v0, v158, v160 :: v_dual_sub_f32 v1, v144, v153
	v_sub_f32_e32 v142, v162, v159
	v_add_f32_e32 v143, v134, v163
	v_sub_f32_e32 v134, v155, v139
	v_dual_sub_f32 v144, v252, v251 :: v_dual_fmamk_f32 v155, v249, 0xbf955555, v173
	ds_store_2addr_b64 v181, v[0:1], v[142:143] offset0:16 offset1:20
	v_dual_sub_f32 v0, v169, v177 :: v_dual_add_f32 v1, v178, v170
	v_dual_sub_f32 v142, v248, v247 :: v_dual_sub_f32 v143, v250, v252
	ds_store_b64 v181, v[0:1] offset:192
	v_dual_sub_f32 v1, v152, v150 :: v_dual_sub_f32 v0, v151, v149
	s_delay_alu instid0(VALU_DEP_1) | instskip(NEXT) | instid1(VALU_DEP_2)
	v_dual_mul_f32 v143, 0x3f4a47b2, v143 :: v_dual_sub_f32 v152, v1, v130
	v_add_f32_e32 v149, v0, v129
	v_dual_sub_f32 v150, v0, v129 :: v_dual_sub_f32 v151, v131, v0
	v_dual_add_f32 v0, v1, v130 :: v_dual_sub_f32 v153, v134, v1
	s_delay_alu instid0(VALU_DEP_4) | instskip(NEXT) | instid1(VALU_DEP_3)
	v_mul_f32_e32 v152, 0x3f08b237, v152
	v_dual_mul_f32 v150, 0x3f08b237, v150 :: v_dual_add_f32 v149, v149, v131
	s_delay_alu instid0(VALU_DEP_3) | instskip(NEXT) | instid1(VALU_DEP_3)
	v_dual_add_f32 v154, v0, v134 :: v_dual_sub_f32 v129, v129, v131
	v_fmamk_f32 v159, v153, 0xbeae86e6, v152
	s_delay_alu instid0(VALU_DEP_3)
	v_fmamk_f32 v160, v151, 0xbeae86e6, v150
	v_mul_f32_e32 v131, 0x3d64c772, v142
	v_sub_f32_e32 v130, v130, v134
	v_mul_f32_e32 v134, 0x3d64c772, v144
	v_fmac_f32_e32 v159, 0xbee1c552, v154
	v_dual_sub_f32 v139, v246, v248 :: v_dual_fmac_f32 v160, 0xbee1c552, v149
	s_delay_alu instid0(VALU_DEP_1) | instskip(NEXT) | instid1(VALU_DEP_1)
	v_mul_f32_e32 v139, 0x3f4a47b2, v139
	v_fmamk_f32 v0, v142, 0x3d64c772, v139
	s_delay_alu instid0(VALU_DEP_1) | instskip(SKIP_1) | instid1(VALU_DEP_1)
	v_add_f32_e32 v157, v0, v155
	v_fmamk_f32 v0, v144, 0x3d64c772, v143
	v_add_f32_e32 v158, v0, v156
	s_delay_alu instid0(VALU_DEP_1) | instskip(SKIP_4) | instid1(VALU_DEP_2)
	v_dual_add_f32 v0, v159, v157 :: v_dual_sub_f32 v1, v158, v160
	s_waitcnt vmcnt(0)
	ds_store_2addr_b64 v161, v[173:174], v[0:1] offset1:4
	v_sub_f32_e32 v0, v247, v246
	v_sub_f32_e32 v1, v251, v250
	v_fma_f32 v131, 0x3f3bfb3b, v0, -v131
	v_fma_f32 v0, 0xbf3bfb3b, v0, -v139
	;; [unrolled: 1-line block ×3, first 2 shown]
	v_mul_f32_e32 v129, 0xbf5ff5aa, v129
	v_fma_f32 v134, 0x3f3bfb3b, v1, -v134
	v_fma_f32 v1, 0xbf3bfb3b, v1, -v143
	v_fma_f32 v143, 0xbf5ff5aa, v130, -v152
	v_add_f32_e32 v131, v131, v155
	v_fma_f32 v142, 0x3eae86e6, v151, -v129
	v_dual_mul_f32 v129, 0xbf5ff5aa, v130 :: v_dual_add_f32 v150, v0, v155
	v_add_f32_e32 v134, v134, v156
	v_add_f32_e32 v151, v1, v156
	v_fmac_f32_e32 v143, 0xbee1c552, v154
	s_delay_alu instid0(VALU_DEP_4) | instskip(SKIP_2) | instid1(VALU_DEP_3)
	v_fma_f32 v144, 0x3eae86e6, v153, -v129
	v_fmac_f32_e32 v142, 0xbee1c552, v149
	v_fmac_f32_e32 v139, 0xbee1c552, v149
	v_dual_sub_f32 v129, v131, v143 :: v_dual_fmac_f32 v144, 0xbee1c552, v154
	s_delay_alu instid0(VALU_DEP_3) | instskip(NEXT) | instid1(VALU_DEP_3)
	v_sub_f32_e32 v1, v151, v142
	v_add_f32_e32 v130, v139, v134
	s_delay_alu instid0(VALU_DEP_3)
	v_add_f32_e32 v0, v144, v150
	ds_store_2addr_b64 v161, v[0:1], v[129:130] offset0:8 offset1:12
	v_add_f32_e32 v130, v142, v151
	scratch_load_b32 v151, off, off offset:308 ; 4-byte Folded Reload
	v_sub_f32_e32 v1, v134, v139
	v_dual_sub_f32 v129, v150, v144 :: v_dual_sub_f32 v150, v188, v185
	v_add_f32_e32 v0, v143, v131
	v_fmamk_f32 v144, v186, 0xbf955555, v176
	v_dual_sub_f32 v134, v189, v188 :: v_dual_fmamk_f32 v143, v184, 0xbf955555, v175
	ds_store_2addr_b64 v161, v[0:1], v[129:130] offset0:16 offset1:20
	v_dual_sub_f32 v0, v157, v159 :: v_dual_add_f32 v1, v160, v158
	v_dual_sub_f32 v129, v254, v191 :: v_dual_sub_f32 v130, v191, v190
	ds_store_b64 v161, v[0:1] offset:192
	v_dual_sub_f32 v1, v138, v141 :: v_dual_sub_f32 v0, v135, v140
	v_mul_f32_e32 v129, 0x3f4a47b2, v129
	s_delay_alu instid0(VALU_DEP_2) | instskip(SKIP_2) | instid1(VALU_DEP_3)
	v_dual_sub_f32 v140, v1, v125 :: v_dual_add_f32 v135, v0, v124
	v_sub_f32_e32 v138, v0, v124
	v_dual_sub_f32 v139, v122, v0 :: v_dual_add_f32 v0, v1, v125
	v_dual_mul_f32 v140, 0x3f08b237, v140 :: v_dual_sub_f32 v125, v125, v123
	s_delay_alu instid0(VALU_DEP_4) | instskip(SKIP_1) | instid1(VALU_DEP_4)
	v_add_f32_e32 v135, v135, v122
	v_sub_f32_e32 v124, v124, v122
	v_dual_add_f32 v142, v0, v123 :: v_dual_sub_f32 v141, v123, v1
	s_delay_alu instid0(VALU_DEP_4) | instskip(SKIP_2) | instid1(VALU_DEP_4)
	v_fma_f32 v122, 0xbf5ff5aa, v125, -v140
	v_mul_f32_e32 v138, 0x3f08b237, v138
	v_mul_f32_e32 v125, 0xbf5ff5aa, v125
	v_fmamk_f32 v147, v141, 0xbeae86e6, v140
	s_delay_alu instid0(VALU_DEP_4)
	v_dual_fmac_f32 v122, 0xbee1c552, v142 :: v_dual_sub_f32 v131, v185, v189
	v_sub_f32_e32 v140, v195, v194
	v_fmamk_f32 v0, v130, 0x3d64c772, v129
	v_fmamk_f32 v148, v139, 0xbeae86e6, v138
	v_fmac_f32_e32 v147, 0xbee1c552, v142
	v_mul_f32_e32 v131, 0x3f4a47b2, v131
	v_sub_f32_e32 v149, v190, v254
	v_add_f32_e32 v145, v0, v143
	v_fmac_f32_e32 v148, 0xbee1c552, v135
	v_fma_f32 v123, 0xbf5ff5aa, v124, -v138
	v_fmamk_f32 v0, v134, 0x3d64c772, v131
	v_mul_f32_e32 v138, 0x3d64c772, v140
	v_fma_f32 v129, 0xbf3bfb3b, v149, -v129
	v_mul_f32_e32 v124, 0xbf5ff5aa, v124
	s_delay_alu instid0(VALU_DEP_4) | instskip(NEXT) | instid1(VALU_DEP_1)
	v_dual_fmac_f32 v123, 0xbee1c552, v135 :: v_dual_add_f32 v146, v0, v144
	v_dual_add_f32 v0, v147, v145 :: v_dual_sub_f32 v1, v146, v148
	s_waitcnt vmcnt(0)
	ds_store_2addr_b64 v151, v[175:176], v[0:1] offset1:4
	v_mul_f32_e32 v0, 0x3d64c772, v130
	v_mul_f32_e32 v1, 0x3d64c772, v134
	s_delay_alu instid0(VALU_DEP_2) | instskip(NEXT) | instid1(VALU_DEP_2)
	v_fma_f32 v0, 0x3f3bfb3b, v149, -v0
	v_fma_f32 v1, 0x3f3bfb3b, v150, -v1
	s_delay_alu instid0(VALU_DEP_2) | instskip(NEXT) | instid1(VALU_DEP_2)
	v_add_f32_e32 v130, v0, v143
	v_add_f32_e32 v134, v1, v144
	s_delay_alu instid0(VALU_DEP_2)
	v_sub_f32_e32 v0, v130, v122
	v_add_f32_e32 v122, v122, v130
	v_fma_f32 v130, 0xbf3bfb3b, v150, -v131
	v_fma_f32 v131, 0x3eae86e6, v141, -v125
	v_add_f32_e32 v1, v123, v134
	v_sub_f32_e32 v123, v134, v123
	v_fma_f32 v134, 0x3eae86e6, v139, -v124
	s_delay_alu instid0(VALU_DEP_4) | instskip(SKIP_4) | instid1(VALU_DEP_3)
	v_dual_add_f32 v130, v130, v144 :: v_dual_fmac_f32 v131, 0xbee1c552, v142
	v_add_f32_e32 v144, v7, v15
	v_dual_add_f32 v129, v129, v143 :: v_dual_fmamk_f32 v142, v196, 0xbf955555, v172
	v_mul_f32_e32 v143, 0x3f08b237, v127
	v_dual_sub_f32 v15, v15, v117 :: v_dual_fmac_f32 v134, 0xbee1c552, v135
	v_dual_add_f32 v124, v131, v129 :: v_dual_sub_f32 v129, v129, v131
	v_sub_f32_e32 v131, v194, v234
	v_add_f32_e32 v141, v6, v121
	v_mul_f32_e32 v6, 0x3d64c772, v133
	s_delay_alu instid0(VALU_DEP_3) | instskip(NEXT) | instid1(VALU_DEP_2)
	v_fma_f32 v138, 0x3f3bfb3b, v131, -v138
	v_fma_f32 v6, 0x3f3bfb3b, v128, -v6
	s_delay_alu instid0(VALU_DEP_2) | instskip(SKIP_2) | instid1(VALU_DEP_2)
	v_add_f32_e32 v127, v138, v142
	v_fma_f32 v138, 0xbf5ff5aa, v3, -v143
	v_mul_f32_e32 v3, 0xbf5ff5aa, v3
	v_fmac_f32_e32 v138, 0xbee1c552, v144
	s_delay_alu instid0(VALU_DEP_2) | instskip(SKIP_1) | instid1(VALU_DEP_2)
	v_fma_f32 v3, 0x3eae86e6, v15, -v3
	v_fmamk_f32 v15, v15, 0xbeae86e6, v143
	v_fmac_f32_e32 v3, 0xbee1c552, v144
	v_sub_f32_e32 v125, v130, v134
	v_add_f32_e32 v130, v134, v130
	v_dual_sub_f32 v134, v145, v147 :: v_dual_mul_f32 v145, 0x3f08b237, v126
	v_dual_add_f32 v126, v6, v137 :: v_dual_fmac_f32 v15, 0xbee1c552, v144
	v_add_f32_e32 v135, v148, v146
	s_delay_alu instid0(VALU_DEP_3) | instskip(NEXT) | instid1(VALU_DEP_3)
	v_fma_f32 v139, 0xbf5ff5aa, v132, -v145
	v_sub_f32_e32 v6, v126, v138
	v_add_f32_e32 v126, v138, v126
	v_sub_f32_e32 v138, v187, v193
	v_mul_f32_e32 v132, 0xbf5ff5aa, v132
	v_fmac_f32_e32 v139, 0xbee1c552, v141
	s_delay_alu instid0(VALU_DEP_3) | instskip(NEXT) | instid1(VALU_DEP_2)
	v_mul_f32_e32 v117, 0x3f4a47b2, v138
	v_add_f32_e32 v7, v139, v127
	v_sub_f32_e32 v127, v127, v139
	v_sub_f32_e32 v139, v234, v195
	s_delay_alu instid0(VALU_DEP_4) | instskip(NEXT) | instid1(VALU_DEP_1)
	v_fma_f32 v128, 0xbf3bfb3b, v128, -v117
	v_dual_mul_f32 v121, 0x3f4a47b2, v139 :: v_dual_add_f32 v128, v128, v137
	v_fma_f32 v139, 0x3eae86e6, v116, -v132
	s_delay_alu instid0(VALU_DEP_2) | instskip(NEXT) | instid1(VALU_DEP_2)
	v_fma_f32 v131, 0xbf3bfb3b, v131, -v121
	v_dual_sub_f32 v138, v128, v3 :: v_dual_fmac_f32 v139, 0xbee1c552, v141
	s_delay_alu instid0(VALU_DEP_2) | instskip(SKIP_3) | instid1(VALU_DEP_4)
	v_add_f32_e32 v146, v131, v142
	v_add_f32_e32 v131, v3, v128
	v_fmamk_f32 v3, v133, 0x3d64c772, v117
	v_fmamk_f32 v117, v140, 0x3d64c772, v121
	v_dual_fmamk_f32 v121, v116, 0xbeae86e6, v145 :: v_dual_sub_f32 v132, v146, v139
	v_add_f32_e32 v139, v139, v146
	s_delay_alu instid0(VALU_DEP_4) | instskip(NEXT) | instid1(VALU_DEP_4)
	v_add_f32_e32 v3, v3, v137
	v_add_f32_e32 v117, v117, v142
	s_delay_alu instid0(VALU_DEP_2)
	v_dual_fmac_f32 v121, 0xbee1c552, v141 :: v_dual_add_f32 v140, v15, v3
	ds_store_2addr_b64 v151, v[124:125], v[0:1] offset0:8 offset1:12
	ds_store_2addr_b64 v151, v[122:123], v[129:130] offset0:16 offset1:20
	ds_store_b64 v151, v[134:135] offset:192
	scratch_load_b32 v0, off, off offset:304 ; 4-byte Folded Reload
	v_dual_sub_f32 v141, v117, v121 :: v_dual_sub_f32 v116, v3, v15
	v_add_f32_e32 v117, v121, v117
	s_waitcnt vmcnt(0)
	ds_store_2addr_b64 v0, v[171:172], v[140:141] offset1:4
	ds_store_2addr_b64 v0, v[131:132], v[6:7] offset0:8 offset1:12
	ds_store_2addr_b64 v0, v[126:127], v[138:139] offset0:16 offset1:20
	ds_store_b64 v0, v[116:117] offset:192
	v_add_nc_u32_e32 v0, 0x2c00, v255
	s_waitcnt lgkmcnt(0)
	s_barrier
	buffer_gl0_inv
	ds_load_2addr_b64 v[172:175], v13 offset0:12 offset1:68
	ds_load_2addr_b64 v[164:167], v13 offset0:124 offset1:180
	ds_load_2addr_b64 v[132:135], v2 offset0:96 offset1:152
	ds_load_2addr_b64 v[168:171], v14 offset0:108 offset1:164
	ds_load_2addr_b64 v[128:131], v5 offset0:80 offset1:136
	ds_load_2addr_b64 v[160:163], v120 offset0:92 offset1:148
	ds_load_2addr_b64 v[124:127], v5 offset0:192 offset1:248
	ds_load_2addr_b64 v[156:159], v0 offset0:76 offset1:132
	ds_load_2addr_b64 v[120:123], v4 offset0:48 offset1:104
	ds_load_2addr_b64 v[4:7], v4 offset0:160 offset1:216
	ds_load_2addr_b64 v[152:155], v136 offset0:60 offset1:116
	ds_load_2addr_b64 v[148:151], v136 offset0:172 offset1:228
	ds_load_2addr_b64 v[0:3], v12 offset0:128 offset1:212
	ds_load_2addr_b64 v[12:15], v12 offset0:16 offset1:72
	v_add_nc_u32_e32 v136, 0x3800, v255
	ds_load_2addr_b64 v[144:147], v136 offset0:28 offset1:84
	ds_load_2addr_b64 v[140:143], v255 offset1:56
	ds_load_2addr_b64 v[136:139], v255 offset0:112 offset1:168
	s_and_saveexec_b32 s1, s0
	s_cbranch_execz .LBB0_19
; %bb.18:
	ds_load_b64 v[116:117], v255 offset:7616
	ds_load_b64 v[118:119], v255 offset:15456
.LBB0_19:
	s_or_b32 exec_lo, exec_lo, s1
	scratch_load_b64 v[177:178], off, off offset:336 ; 8-byte Folded Reload
	s_waitcnt vmcnt(0) lgkmcnt(16)
	v_mul_f32_e32 v176, v178, v173
	s_delay_alu instid0(VALU_DEP_1) | instskip(SKIP_1) | instid1(VALU_DEP_1)
	v_fmac_f32_e32 v176, v177, v172
	v_mul_f32_e32 v172, v178, v172
	v_fma_f32 v172, v177, v173, -v172
	scratch_load_b64 v[177:178], off, off offset:328 ; 8-byte Folded Reload
	s_waitcnt vmcnt(0)
	v_mul_f32_e32 v173, v178, v175
	s_delay_alu instid0(VALU_DEP_1) | instskip(SKIP_1) | instid1(VALU_DEP_1)
	v_fmac_f32_e32 v173, v177, v174
	v_mul_f32_e32 v174, v178, v174
	v_fma_f32 v174, v177, v175, -v174
	scratch_load_b64 v[177:178], off, off offset:320 ; 8-byte Folded Reload
	s_waitcnt vmcnt(0) lgkmcnt(15)
	v_mul_f32_e32 v175, v178, v165
	s_delay_alu instid0(VALU_DEP_1) | instskip(SKIP_1) | instid1(VALU_DEP_1)
	v_fmac_f32_e32 v175, v177, v164
	v_mul_f32_e32 v164, v178, v164
	v_fma_f32 v164, v177, v165, -v164
	scratch_load_b64 v[177:178], off, off offset:348 ; 8-byte Folded Reload
	v_mul_f32_e32 v165, v209, v167
	s_delay_alu instid0(VALU_DEP_1) | instskip(SKIP_1) | instid1(VALU_DEP_1)
	v_fmac_f32_e32 v165, v208, v166
	v_mul_f32_e32 v166, v209, v166
	v_fma_f32 v166, v208, v167, -v166
	s_waitcnt lgkmcnt(13)
	v_mul_f32_e32 v167, v207, v169
	s_delay_alu instid0(VALU_DEP_1) | instskip(SKIP_1) | instid1(VALU_DEP_1)
	v_fmac_f32_e32 v167, v206, v168
	v_mul_f32_e32 v168, v207, v168
	v_fma_f32 v168, v206, v169, -v168
	v_mul_f32_e32 v169, v205, v171
	s_delay_alu instid0(VALU_DEP_1) | instskip(SKIP_1) | instid1(VALU_DEP_1)
	v_fmac_f32_e32 v169, v204, v170
	v_mul_f32_e32 v170, v205, v170
	v_fma_f32 v170, v204, v171, -v170
	s_waitcnt vmcnt(0) lgkmcnt(11)
	v_mul_f32_e32 v171, v178, v161
	s_delay_alu instid0(VALU_DEP_1) | instskip(SKIP_1) | instid1(VALU_DEP_1)
	v_fmac_f32_e32 v171, v177, v160
	v_mul_f32_e32 v160, v178, v160
	v_fma_f32 v160, v177, v161, -v160
	scratch_load_b64 v[177:178], off, off offset:312 ; 8-byte Folded Reload
	v_mul_f32_e32 v161, v217, v163
	s_waitcnt vmcnt(0) lgkmcnt(0)
	s_barrier
	buffer_gl0_inv
	v_fmac_f32_e32 v161, v216, v162
	v_mul_f32_e32 v162, v217, v162
	s_delay_alu instid0(VALU_DEP_1) | instskip(SKIP_1) | instid1(VALU_DEP_1)
	v_fma_f32 v162, v216, v163, -v162
	v_mul_f32_e32 v163, v215, v157
	v_fmac_f32_e32 v163, v214, v156
	v_mul_f32_e32 v156, v215, v156
	s_delay_alu instid0(VALU_DEP_1) | instskip(SKIP_1) | instid1(VALU_DEP_1)
	v_fma_f32 v156, v214, v157, -v156
	v_mul_f32_e32 v157, v213, v159
	;; [unrolled: 5-line block ×9, first 2 shown]
	v_fmac_f32_e32 v147, v177, v2
	v_mul_f32_e32 v2, v178, v2
	s_delay_alu instid0(VALU_DEP_1) | instskip(NEXT) | instid1(VALU_DEP_3)
	v_fma_f32 v3, v177, v3, -v2
	v_sub_f32_e32 v2, v140, v147
	scratch_load_b32 v147, off, off offset:376 ; 4-byte Folded Reload
	v_sub_f32_e32 v3, v141, v3
	v_fma_f32 v140, v140, 2.0, -v2
	s_delay_alu instid0(VALU_DEP_2) | instskip(SKIP_4) | instid1(VALU_DEP_2)
	v_fma_f32 v141, v141, 2.0, -v3
	s_waitcnt vmcnt(0)
	ds_store_2addr_b64 v147, v[140:141], v[2:3] offset1:28
	v_sub_f32_e32 v2, v142, v176
	v_sub_f32_e32 v3, v143, v172
	v_fma_f32 v140, v142, 2.0, -v2
	scratch_load_b32 v142, off, off offset:412 ; 4-byte Folded Reload
	v_fma_f32 v141, v143, 2.0, -v3
	s_waitcnt vmcnt(0)
	ds_store_2addr_b64 v142, v[140:141], v[2:3] offset1:28
	scratch_load_b32 v140, off, off offset:408 ; 4-byte Folded Reload
	v_dual_sub_f32 v2, v136, v173 :: v_dual_sub_f32 v3, v137, v174
	s_delay_alu instid0(VALU_DEP_1) | instskip(NEXT) | instid1(VALU_DEP_2)
	v_fma_f32 v136, v136, 2.0, -v2
	v_fma_f32 v137, v137, 2.0, -v3
	s_waitcnt vmcnt(0)
	ds_store_2addr_b64 v140, v[136:137], v[2:3] offset1:28
	v_dual_sub_f32 v2, v138, v175 :: v_dual_sub_f32 v3, v139, v164
	s_delay_alu instid0(VALU_DEP_1)
	v_fma_f32 v136, v138, 2.0, -v2
	scratch_load_b32 v138, off, off offset:400 ; 4-byte Folded Reload
	v_fma_f32 v137, v139, 2.0, -v3
	s_waitcnt vmcnt(0)
	ds_store_2addr_b64 v138, v[136:137], v[2:3] offset1:28
	scratch_load_b32 v136, off, off offset:436 ; 4-byte Folded Reload
	v_dual_sub_f32 v2, v132, v165 :: v_dual_sub_f32 v3, v133, v166
	s_delay_alu instid0(VALU_DEP_1) | instskip(NEXT) | instid1(VALU_DEP_2)
	v_fma_f32 v132, v132, 2.0, -v2
	v_fma_f32 v133, v133, 2.0, -v3
	s_waitcnt vmcnt(0)
	ds_store_2addr_b64 v136, v[132:133], v[2:3] offset1:28
	v_dual_sub_f32 v2, v134, v167 :: v_dual_sub_f32 v3, v135, v168
	scratch_load_b32 v136, off, off offset:404 ; 4-byte Folded Reload
	v_fma_f32 v132, v134, 2.0, -v2
	scratch_load_b32 v134, off, off offset:432 ; 4-byte Folded Reload
	v_fma_f32 v133, v135, 2.0, -v3
	v_sub_f32_e32 v135, v1, v146
	s_delay_alu instid0(VALU_DEP_1)
	v_fma_f32 v1, v1, 2.0, -v135
	s_waitcnt vmcnt(0)
	ds_store_2addr_b64 v134, v[132:133], v[2:3] offset1:28
	scratch_load_b32 v132, off, off offset:428 ; 4-byte Folded Reload
	v_dual_sub_f32 v2, v128, v169 :: v_dual_sub_f32 v3, v129, v170
	v_sub_f32_e32 v133, v15, v144
	s_delay_alu instid0(VALU_DEP_2) | instskip(NEXT) | instid1(VALU_DEP_3)
	v_fma_f32 v128, v128, 2.0, -v2
	v_fma_f32 v129, v129, 2.0, -v3
	s_delay_alu instid0(VALU_DEP_3) | instskip(SKIP_3) | instid1(VALU_DEP_1)
	v_fma_f32 v15, v15, 2.0, -v133
	s_waitcnt vmcnt(0)
	ds_store_2addr_b64 v132, v[128:129], v[2:3] offset1:28
	v_dual_sub_f32 v2, v130, v171 :: v_dual_sub_f32 v3, v131, v160
	v_fma_f32 v128, v130, 2.0, -v2
	scratch_load_b32 v130, off, off offset:424 ; 4-byte Folded Reload
	v_fma_f32 v129, v131, 2.0, -v3
	v_sub_f32_e32 v131, v13, v150
	s_delay_alu instid0(VALU_DEP_1)
	v_fma_f32 v13, v13, 2.0, -v131
	s_waitcnt vmcnt(0)
	ds_store_2addr_b64 v130, v[128:129], v[2:3] offset1:28
	scratch_load_b32 v128, off, off offset:416 ; 4-byte Folded Reload
	v_dual_sub_f32 v2, v124, v161 :: v_dual_sub_f32 v3, v125, v162
	v_dual_sub_f32 v129, v7, v148 :: v_dual_sub_f32 v130, v12, v149
	s_delay_alu instid0(VALU_DEP_2) | instskip(NEXT) | instid1(VALU_DEP_3)
	v_fma_f32 v124, v124, 2.0, -v2
	v_fma_f32 v125, v125, 2.0, -v3
	s_delay_alu instid0(VALU_DEP_3) | instskip(NEXT) | instid1(VALU_DEP_4)
	v_fma_f32 v7, v7, 2.0, -v129
	v_fma_f32 v12, v12, 2.0, -v130
	s_waitcnt vmcnt(0)
	ds_store_2addr_b64 v128, v[124:125], v[2:3] offset1:28
	v_dual_sub_f32 v2, v126, v163 :: v_dual_sub_f32 v3, v127, v156
	v_sub_f32_e32 v128, v6, v155
	v_sub_f32_e32 v132, v14, v151
	s_delay_alu instid0(VALU_DEP_3)
	v_fma_f32 v124, v126, 2.0, -v2
	scratch_load_b32 v126, off, off offset:420 ; 4-byte Folded Reload
	v_fma_f32 v125, v127, 2.0, -v3
	v_sub_f32_e32 v127, v5, v154
	v_fma_f32 v6, v6, 2.0, -v128
	v_fma_f32 v14, v14, 2.0, -v132
	s_delay_alu instid0(VALU_DEP_3)
	v_fma_f32 v5, v5, 2.0, -v127
	s_waitcnt vmcnt(0)
	ds_store_2addr_b64 v126, v[124:125], v[2:3] offset1:28
	v_dual_sub_f32 v2, v120, v157 :: v_dual_sub_f32 v3, v121, v158
	v_dual_sub_f32 v124, v122, v159 :: v_dual_sub_f32 v125, v123, v152
	v_sub_f32_e32 v126, v4, v153
	s_delay_alu instid0(VALU_DEP_3) | instskip(NEXT) | instid1(VALU_DEP_4)
	v_fma_f32 v120, v120, 2.0, -v2
	v_fma_f32 v121, v121, 2.0, -v3
	s_delay_alu instid0(VALU_DEP_4)
	v_fma_f32 v122, v122, 2.0, -v124
	v_fma_f32 v123, v123, 2.0, -v125
	;; [unrolled: 1-line block ×3, first 2 shown]
	v_sub_f32_e32 v134, v0, v145
	ds_store_2addr_b64 v136, v[120:121], v[2:3] offset1:28
	scratch_load_b32 v2, off, off offset:396 ; 4-byte Folded Reload
	v_fma_f32 v0, v0, 2.0, -v134
	s_waitcnt vmcnt(0)
	ds_store_2addr_b64 v2, v[122:123], v[124:125] offset1:28
	scratch_load_b32 v2, off, off offset:392 ; 4-byte Folded Reload
	s_waitcnt vmcnt(0)
	ds_store_2addr_b64 v2, v[4:5], v[126:127] offset1:28
	scratch_load_b32 v2, off, off offset:388 ; 4-byte Folded Reload
	;; [unrolled: 3-line block ×5, first 2 shown]
	s_waitcnt vmcnt(0)
	ds_store_2addr_b64 v2, v[0:1], v[134:135] offset1:28
	s_and_saveexec_b32 s1, s0
	s_cbranch_execz .LBB0_21
; %bb.20:
	s_clause 0x1
	scratch_load_b64 v[1:2], off, off offset:452
	scratch_load_b32 v4, off, off offset:300
	s_waitcnt vmcnt(1)
	v_mul_f32_e32 v0, v2, v118
	s_waitcnt vmcnt(0)
	v_add_nc_u32_e32 v4, 0x3800, v4
	s_delay_alu instid0(VALU_DEP_2) | instskip(SKIP_1) | instid1(VALU_DEP_1)
	v_fma_f32 v0, v1, v119, -v0
	v_mul_f32_e32 v2, v2, v119
	v_fmac_f32_e32 v2, v1, v118
	s_delay_alu instid0(VALU_DEP_1) | instskip(NEXT) | instid1(VALU_DEP_1)
	v_dual_sub_f32 v1, v117, v0 :: v_dual_sub_f32 v0, v116, v2
	v_fma_f32 v3, v117, 2.0, -v1
	s_delay_alu instid0(VALU_DEP_2)
	v_fma_f32 v2, v116, 2.0, -v0
	ds_store_2addr_b64 v4, v[2:3], v[0:1] offset0:112 offset1:140
.LBB0_21:
	s_or_b32 exec_lo, exec_lo, s1
	v_add_nc_u32_e32 v116, 0x1000, v255
	s_waitcnt lgkmcnt(0)
	s_barrier
	buffer_gl0_inv
	v_add_nc_u32_e32 v13, 0x2000, v255
	ds_load_2addr_b64 v[0:3], v116 offset0:48 offset1:104
	v_add_nc_u32_e32 v6, 0x2400, v255
	v_add_nc_u32_e32 v14, 0x1800, v255
	s_mov_b32 s2, 0xec259dc8
	s_mov_b32 s3, 0x3f40b7e6
	s_mul_hi_u32 s1, s4, 0x1ea
	s_mul_i32 s8, s4, 0xffffd3d0
	v_add_nc_u32_e32 v12, 0x2800, v255
	v_add_nc_u32_e32 v15, 0x800, v255
	s_waitcnt lgkmcnt(0)
	v_mul_f32_e32 v125, v11, v1
	v_mul_f32_e32 v117, v11, v3
	s_delay_alu instid0(VALU_DEP_2) | instskip(NEXT) | instid1(VALU_DEP_2)
	v_fmac_f32_e32 v125, v10, v0
	v_dual_mul_f32 v0, v11, v0 :: v_dual_fmac_f32 v117, v10, v2
	s_delay_alu instid0(VALU_DEP_1) | instskip(SKIP_1) | instid1(VALU_DEP_1)
	v_fma_f32 v126, v10, v1, -v0
	v_dual_mul_f32 v0, v11, v2 :: v_dual_add_nc_u32 v11, 0x3800, v255
	v_fma_f32 v118, v10, v3, -v0
	ds_load_2addr_b64 v[0:3], v13 offset0:96 offset1:152
	s_waitcnt lgkmcnt(0)
	v_dual_mul_f32 v127, v19, v1 :: v_dual_add_nc_u32 v10, 0x3000, v255
	v_mul_f32_e32 v119, v19, v3
	s_delay_alu instid0(VALU_DEP_2) | instskip(NEXT) | instid1(VALU_DEP_2)
	v_fmac_f32_e32 v127, v18, v0
	v_dual_mul_f32 v0, v19, v0 :: v_dual_fmac_f32 v119, v18, v2
	s_delay_alu instid0(VALU_DEP_1) | instskip(SKIP_1) | instid1(VALU_DEP_1)
	v_fma_f32 v128, v18, v1, -v0
	v_mul_f32_e32 v0, v19, v2
	v_fma_f32 v120, v18, v3, -v0
	ds_load_2addr_b64 v[0:3], v10 offset0:144 offset1:200
	s_waitcnt lgkmcnt(0)
	v_dual_mul_f32 v129, v27, v1 :: v_dual_add_nc_u32 v18, 0x1c00, v255
	v_mul_f32_e32 v121, v27, v3
	s_delay_alu instid0(VALU_DEP_2) | instskip(SKIP_1) | instid1(VALU_DEP_1)
	v_fmac_f32_e32 v129, v26, v0
	v_mul_f32_e32 v0, v27, v0
	v_fma_f32 v130, v26, v1, -v0
	v_mul_f32_e32 v0, v27, v2
	s_delay_alu instid0(VALU_DEP_1) | instskip(SKIP_4) | instid1(VALU_DEP_1)
	v_fma_f32 v122, v26, v3, -v0
	ds_load_b64 v[0:1], v255 offset:15232
	v_fmac_f32_e32 v121, v26, v2
	s_waitcnt lgkmcnt(0)
	v_mul_f32_e32 v7, v115, v1
	v_fmac_f32_e32 v7, v114, v0
	v_mul_f32_e32 v0, v115, v0
	s_delay_alu instid0(VALU_DEP_1) | instskip(SKIP_3) | instid1(VALU_DEP_1)
	v_fma_f32 v19, v114, v1, -v0
	ds_load_2addr_b64 v[0:3], v10 offset0:32 offset1:88
	s_waitcnt lgkmcnt(0)
	v_mul_f32_e32 v26, v113, v3
	v_fmac_f32_e32 v26, v112, v2
	v_mul_f32_e32 v2, v113, v2
	s_delay_alu instid0(VALU_DEP_1) | instskip(SKIP_1) | instid1(VALU_DEP_1)
	v_fma_f32 v27, v112, v3, -v2
	v_mul_f32_e32 v112, v109, v1
	v_fmac_f32_e32 v112, v108, v0
	v_mul_f32_e32 v0, v109, v0
	s_delay_alu instid0(VALU_DEP_1) | instskip(SKIP_3) | instid1(VALU_DEP_1)
	v_fma_f32 v108, v108, v1, -v0
	ds_load_2addr_b64 v[0:3], v11 offset1:56
	s_waitcnt lgkmcnt(0)
	v_mul_f32_e32 v109, v111, v3
	v_fmac_f32_e32 v109, v110, v2
	v_mul_f32_e32 v2, v111, v2
	v_mul_f32_e32 v111, v87, v1
	s_delay_alu instid0(VALU_DEP_2) | instskip(NEXT) | instid1(VALU_DEP_2)
	v_fma_f32 v110, v110, v3, -v2
	v_fmac_f32_e32 v111, v86, v0
	v_mul_f32_e32 v0, v87, v0
	s_delay_alu instid0(VALU_DEP_1) | instskip(SKIP_3) | instid1(VALU_DEP_1)
	v_fma_f32 v113, v86, v1, -v0
	ds_load_2addr_b64 v[0:3], v12 offset0:176 offset1:232
	s_waitcnt lgkmcnt(0)
	v_mul_f32_e32 v114, v85, v3
	v_dual_mul_f32 v123, v25, v1 :: v_dual_fmac_f32 v114, v84, v2
	s_delay_alu instid0(VALU_DEP_1) | instskip(SKIP_1) | instid1(VALU_DEP_2)
	v_dual_mul_f32 v2, v85, v2 :: v_dual_fmac_f32 v123, v24, v0
	v_mul_f32_e32 v0, v25, v0
	v_fma_f32 v115, v84, v3, -v2
	s_delay_alu instid0(VALU_DEP_3) | instskip(NEXT) | instid1(VALU_DEP_3)
	v_add_f32_e32 v145, v117, v123
	v_fma_f32 v124, v24, v1, -v0
	ds_load_2addr_b64 v[0:3], v12 offset0:64 offset1:120
	v_add_f32_e32 v149, v118, v124
	s_waitcnt lgkmcnt(0)
	v_mul_f32_e32 v131, v25, v3
	s_delay_alu instid0(VALU_DEP_1) | instskip(SKIP_1) | instid1(VALU_DEP_2)
	v_fmac_f32_e32 v131, v24, v2
	v_mul_f32_e32 v2, v25, v2
	v_add_f32_e32 v137, v125, v131
	s_delay_alu instid0(VALU_DEP_2) | instskip(NEXT) | instid1(VALU_DEP_1)
	v_fma_f32 v132, v24, v3, -v2
	v_dual_mul_f32 v24, v107, v1 :: v_dual_add_f32 v141, v126, v132
	s_delay_alu instid0(VALU_DEP_1) | instskip(SKIP_1) | instid1(VALU_DEP_1)
	v_fmac_f32_e32 v24, v106, v0
	v_mul_f32_e32 v0, v107, v0
	v_fma_f32 v25, v106, v1, -v0
	ds_load_2addr_b64 v[0:3], v18 offset0:112 offset1:168
	s_waitcnt lgkmcnt(0)
	v_mul_f32_e32 v84, v105, v3
	v_mul_f32_e32 v86, v101, v1
	s_delay_alu instid0(VALU_DEP_2) | instskip(SKIP_1) | instid1(VALU_DEP_3)
	v_fmac_f32_e32 v84, v104, v2
	v_mul_f32_e32 v2, v105, v2
	v_fmac_f32_e32 v86, v100, v0
	v_mul_f32_e32 v0, v101, v0
	s_delay_alu instid0(VALU_DEP_3) | instskip(NEXT) | instid1(VALU_DEP_2)
	v_fma_f32 v85, v104, v3, -v2
	v_fma_f32 v87, v100, v1, -v0
	ds_load_2addr_b64 v[0:3], v6 offset0:80 offset1:136
	s_waitcnt lgkmcnt(0)
	v_mul_f32_e32 v100, v103, v3
	s_delay_alu instid0(VALU_DEP_1) | instskip(SKIP_1) | instid1(VALU_DEP_1)
	v_fmac_f32_e32 v100, v102, v2
	v_mul_f32_e32 v2, v103, v2
	v_fma_f32 v101, v102, v3, -v2
	v_mul_f32_e32 v102, v75, v1
	s_delay_alu instid0(VALU_DEP_1) | instskip(SKIP_1) | instid1(VALU_DEP_1)
	v_fmac_f32_e32 v102, v74, v0
	v_mul_f32_e32 v0, v75, v0
	v_fma_f32 v103, v74, v1, -v0
	ds_load_2addr_b64 v[0:3], v14 offset0:128 offset1:184
	s_waitcnt lgkmcnt(0)
	v_mul_f32_e32 v104, v73, v3
	v_mul_f32_e32 v106, v17, v1
	s_delay_alu instid0(VALU_DEP_2) | instskip(SKIP_1) | instid1(VALU_DEP_3)
	v_fmac_f32_e32 v104, v72, v2
	v_mul_f32_e32 v2, v73, v2
	v_fmac_f32_e32 v106, v16, v0
	v_mul_f32_e32 v0, v17, v0
	s_delay_alu instid0(VALU_DEP_3) | instskip(NEXT) | instid1(VALU_DEP_3)
	v_fma_f32 v105, v72, v3, -v2
	v_add_f32_e32 v146, v106, v119
	s_delay_alu instid0(VALU_DEP_3) | instskip(SKIP_3) | instid1(VALU_DEP_1)
	v_fma_f32 v107, v16, v1, -v0
	ds_load_2addr_b64 v[0:3], v14 offset0:16 offset1:72
	s_waitcnt lgkmcnt(0)
	v_dual_add_f32 v150, v107, v120 :: v_dual_mul_f32 v133, v17, v3
	v_fmac_f32_e32 v133, v16, v2
	v_dual_mul_f32 v2, v17, v2 :: v_dual_mul_f32 v17, v95, v1
	s_delay_alu instid0(VALU_DEP_1) | instskip(NEXT) | instid1(VALU_DEP_2)
	v_fma_f32 v134, v16, v3, -v2
	v_fmac_f32_e32 v17, v94, v0
	v_mul_f32_e32 v0, v95, v0
	v_add_nc_u32_e32 v16, 0x400, v255
	s_delay_alu instid0(VALU_DEP_4) | instskip(SKIP_1) | instid1(VALU_DEP_4)
	v_add_f32_e32 v142, v134, v128
	v_add_f32_e32 v138, v133, v127
	v_fma_f32 v72, v94, v1, -v0
	ds_load_2addr_b64 v[0:3], v15 offset0:192 offset1:248
	s_waitcnt lgkmcnt(0)
	v_mul_f32_e32 v73, v93, v3
	v_mul_f32_e32 v75, v89, v1
	s_delay_alu instid0(VALU_DEP_2) | instskip(NEXT) | instid1(VALU_DEP_2)
	v_fmac_f32_e32 v73, v92, v2
	v_dual_mul_f32 v2, v93, v2 :: v_dual_fmac_f32 v75, v88, v0
	v_mul_f32_e32 v0, v89, v0
	s_delay_alu instid0(VALU_DEP_2) | instskip(NEXT) | instid1(VALU_DEP_2)
	v_fma_f32 v74, v92, v3, -v2
	v_fma_f32 v88, v88, v1, -v0
	ds_load_2addr_b64 v[0:3], v116 offset0:160 offset1:216
	s_waitcnt lgkmcnt(0)
	v_mul_f32_e32 v89, v91, v3
	s_delay_alu instid0(VALU_DEP_1) | instskip(SKIP_2) | instid1(VALU_DEP_2)
	v_fmac_f32_e32 v89, v90, v2
	v_mul_f32_e32 v2, v91, v2
	v_mul_f32_e32 v91, v39, v1
	v_fma_f32 v90, v90, v3, -v2
	s_delay_alu instid0(VALU_DEP_2) | instskip(SKIP_1) | instid1(VALU_DEP_1)
	v_fmac_f32_e32 v91, v38, v0
	v_mul_f32_e32 v0, v39, v0
	v_fma_f32 v38, v38, v1, -v0
	ds_load_2addr_b64 v[0:3], v15 offset0:80 offset1:136
	s_waitcnt lgkmcnt(0)
	v_mul_f32_e32 v39, v37, v3
	s_delay_alu instid0(VALU_DEP_1) | instskip(SKIP_2) | instid1(VALU_DEP_2)
	v_fmac_f32_e32 v39, v36, v2
	v_mul_f32_e32 v2, v37, v2
	v_mul_f32_e32 v37, v9, v1
	v_fma_f32 v36, v36, v3, -v2
	s_delay_alu instid0(VALU_DEP_2) | instskip(SKIP_1) | instid1(VALU_DEP_1)
	v_fmac_f32_e32 v37, v8, v0
	v_mul_f32_e32 v0, v9, v0
	v_fma_f32 v92, v8, v1, -v0
	ds_load_2addr_b64 v[0:3], v16 offset0:96 offset1:152
	s_waitcnt lgkmcnt(0)
	v_dual_add_f32 v148, v92, v122 :: v_dual_mul_f32 v95, v9, v3
	s_delay_alu instid0(VALU_DEP_1) | instskip(SKIP_1) | instid1(VALU_DEP_2)
	v_fmac_f32_e32 v95, v8, v2
	v_mul_f32_e32 v2, v9, v2
	v_add_f32_e32 v136, v95, v129
	s_delay_alu instid0(VALU_DEP_2) | instskip(SKIP_1) | instid1(VALU_DEP_2)
	v_fma_f32 v135, v8, v3, -v2
	v_sub_f32_e32 v95, v95, v129
	v_add_f32_e32 v140, v135, v130
	v_dual_sub_f32 v129, v135, v130 :: v_dual_sub_f32 v130, v125, v131
	v_sub_f32_e32 v131, v126, v132
	v_add_f32_e32 v2, v137, v136
	s_delay_alu instid0(VALU_DEP_1) | instskip(SKIP_1) | instid1(VALU_DEP_1)
	v_dual_add_f32 v144, v37, v121 :: v_dual_add_f32 v139, v138, v2
	v_add_f32_e32 v2, v141, v140
	v_dual_add_f32 v143, v142, v2 :: v_dual_add_f32 v2, v145, v144
	s_delay_alu instid0(VALU_DEP_1) | instskip(NEXT) | instid1(VALU_DEP_1)
	v_dual_add_f32 v147, v146, v2 :: v_dual_add_f32 v2, v149, v148
	v_add_f32_e32 v151, v150, v2
	ds_load_2addr_b64 v[2:5], v255 offset1:56
	s_waitcnt lgkmcnt(0)
	v_add_f32_e32 v8, v2, v139
	v_sub_f32_e32 v2, v127, v133
	v_add_f32_e32 v9, v3, v143
	v_add_f32_e32 v93, v4, v147
	v_dual_add_f32 v94, v5, v151 :: v_dual_sub_f32 v3, v128, v134
	s_delay_alu instid0(VALU_DEP_4) | instskip(SKIP_2) | instid1(VALU_DEP_4)
	v_add_f32_e32 v125, v2, v130
	v_dual_sub_f32 v126, v2, v130 :: v_dual_fmamk_f32 v139, v139, 0xbf955555, v8
	v_sub_f32_e32 v132, v95, v2
	v_add_f32_e32 v2, v3, v131
	s_delay_alu instid0(VALU_DEP_4) | instskip(NEXT) | instid1(VALU_DEP_4)
	v_add_f32_e32 v135, v125, v95
	v_mul_f32_e32 v153, 0x3f08b237, v126
	v_sub_f32_e32 v5, v140, v142
	v_dual_sub_f32 v4, v136, v138 :: v_dual_sub_f32 v127, v138, v137
	v_dual_sub_f32 v128, v142, v141 :: v_dual_sub_f32 v133, v3, v131
	v_fmamk_f32 v143, v143, 0xbf955555, v9
	s_delay_alu instid0(VALU_DEP_3)
	v_mul_f32_e32 v142, 0x3f4a47b2, v4
	v_sub_f32_e32 v134, v129, v3
	v_add_f32_e32 v138, v2, v129
	v_mul_f32_e32 v152, 0x3f4a47b2, v5
	v_mul_f32_e32 v133, 0x3f08b237, v133
	v_fmamk_f32 v2, v127, 0x3d64c772, v142
	v_fmamk_f32 v157, v132, 0xbeae86e6, v153
	s_delay_alu instid0(VALU_DEP_3) | instskip(NEXT) | instid1(VALU_DEP_3)
	v_fmamk_f32 v156, v134, 0xbeae86e6, v133
	v_add_f32_e32 v154, v2, v139
	s_delay_alu instid0(VALU_DEP_3) | instskip(SKIP_1) | instid1(VALU_DEP_1)
	v_fmac_f32_e32 v157, 0xbee1c552, v135
	v_fmamk_f32 v2, v128, 0x3d64c772, v152
	v_dual_fmac_f32 v156, 0xbee1c552, v138 :: v_dual_add_f32 v155, v2, v143
	ds_load_2addr_b64 v[2:5], v255 offset0:112 offset1:168
	v_add_f32_e32 v125, v156, v154
	s_waitcnt lgkmcnt(0)
	s_barrier
	v_sub_f32_e32 v126, v155, v157
	buffer_gl0_inv
	ds_store_2addr_b64 v255, v[8:9], v[125:126] offset1:56
	v_sub_f32_e32 v8, v137, v136
	v_sub_f32_e32 v9, v141, v140
	v_dual_sub_f32 v125, v131, v129 :: v_dual_mul_f32 v126, 0x3d64c772, v127
	v_mul_f32_e32 v127, 0x3d64c772, v128
	v_sub_f32_e32 v95, v130, v95
	s_delay_alu instid0(VALU_DEP_3) | instskip(NEXT) | instid1(VALU_DEP_4)
	v_fma_f32 v129, 0xbf5ff5aa, v125, -v133
	v_fma_f32 v126, 0x3f3bfb3b, v8, -v126
	s_delay_alu instid0(VALU_DEP_4)
	v_fma_f32 v127, 0x3f3bfb3b, v9, -v127
	v_fma_f32 v9, 0xbf3bfb3b, v9, -v152
	;; [unrolled: 1-line block ×3, first 2 shown]
	v_mul_f32_e32 v95, 0xbf5ff5aa, v95
	v_mul_f32_e32 v125, 0xbf5ff5aa, v125
	v_add_f32_e32 v131, v126, v139
	v_add_f32_e32 v133, v9, v143
	v_fma_f32 v8, 0xbf3bfb3b, v8, -v142
	v_fma_f32 v95, 0x3eae86e6, v132, -v95
	;; [unrolled: 1-line block ×3, first 2 shown]
	v_add_f32_e32 v127, v127, v143
	s_delay_alu instid0(VALU_DEP_4) | instskip(NEXT) | instid1(VALU_DEP_3)
	v_dual_fmac_f32 v129, 0xbee1c552, v138 :: v_dual_add_f32 v132, v8, v139
	v_dual_fmac_f32 v95, 0xbee1c552, v135 :: v_dual_fmac_f32 v130, 0xbee1c552, v138
	s_delay_alu instid0(VALU_DEP_2) | instskip(NEXT) | instid1(VALU_DEP_2)
	v_dual_fmac_f32 v128, 0xbee1c552, v135 :: v_dual_sub_f32 v125, v131, v129
	v_dual_sub_f32 v9, v133, v95 :: v_dual_add_f32 v8, v130, v132
	s_delay_alu instid0(VALU_DEP_2)
	v_add_f32_e32 v126, v128, v127
	ds_store_2addr_b64 v255, v[8:9], v[125:126] offset0:112 offset1:168
	v_dual_add_f32 v8, v129, v131 :: v_dual_sub_f32 v9, v127, v128
	v_dual_sub_f32 v125, v132, v130 :: v_dual_add_f32 v126, v95, v133
	v_fmamk_f32 v95, v147, 0xbf955555, v93
	ds_store_2addr_b64 v16, v[8:9], v[125:126] offset0:96 offset1:152
	v_dual_sub_f32 v8, v154, v156 :: v_dual_add_f32 v9, v157, v155
	ds_store_2addr_b64 v15, v[8:9], v[93:94] offset0:80 offset1:136
	v_dual_sub_f32 v93, v119, v106 :: v_dual_sub_f32 v106, v120, v107
	v_sub_f32_e32 v120, v148, v150
	v_sub_f32_e32 v8, v37, v121
	v_dual_sub_f32 v37, v117, v123 :: v_dual_fmamk_f32 v94, v151, 0xbf955555, v94
	v_sub_f32_e32 v9, v92, v122
	v_sub_f32_e32 v121, v150, v149
	;; [unrolled: 1-line block ×3, first 2 shown]
	s_delay_alu instid0(VALU_DEP_4) | instskip(SKIP_3) | instid1(VALU_DEP_4)
	v_dual_add_f32 v122, v93, v37 :: v_dual_sub_f32 v117, v144, v146
	v_sub_f32_e32 v123, v93, v37
	v_sub_f32_e32 v93, v8, v93
	v_sub_f32_e32 v37, v37, v8
	v_add_f32_e32 v122, v122, v8
	v_add_f32_e32 v8, v106, v92
	v_sub_f32_e32 v119, v149, v148
	v_sub_f32_e32 v125, v92, v9
	v_dual_sub_f32 v107, v145, v144 :: v_dual_sub_f32 v118, v146, v145
	s_delay_alu instid0(VALU_DEP_4) | instskip(SKIP_2) | instid1(VALU_DEP_1)
	v_add_f32_e32 v126, v8, v9
	v_mul_f32_e32 v8, 0x3f4a47b2, v117
	v_mul_f32_e32 v117, 0x3f08b237, v123
	v_dual_fmamk_f32 v127, v93, 0xbeae86e6, v117 :: v_dual_sub_f32 v124, v106, v92
	v_dual_sub_f32 v106, v9, v106 :: v_dual_mul_f32 v9, 0x3f4a47b2, v120
	s_delay_alu instid0(VALU_DEP_4) | instskip(SKIP_1) | instid1(VALU_DEP_3)
	v_fmamk_f32 v92, v118, 0x3d64c772, v8
	v_fma_f32 v8, 0xbf3bfb3b, v107, -v8
	v_fmamk_f32 v123, v121, 0x3d64c772, v9
	v_fma_f32 v9, 0xbf3bfb3b, v119, -v9
	s_delay_alu instid0(VALU_DEP_4) | instskip(NEXT) | instid1(VALU_DEP_3)
	v_add_f32_e32 v129, v92, v95
	v_add_f32_e32 v123, v123, v94
	s_delay_alu instid0(VALU_DEP_3) | instskip(SKIP_1) | instid1(VALU_DEP_1)
	v_add_f32_e32 v131, v9, v94
	v_fmac_f32_e32 v127, 0xbee1c552, v122
	v_dual_sub_f32 v9, v123, v127 :: v_dual_mul_f32 v120, 0x3f08b237, v124
	v_mul_f32_e32 v124, 0xbf5ff5aa, v37
	v_fma_f32 v37, 0xbf5ff5aa, v37, -v117
	s_delay_alu instid0(VALU_DEP_2) | instskip(SKIP_1) | instid1(VALU_DEP_3)
	v_fma_f32 v124, 0x3eae86e6, v93, -v124
	v_mul_f32_e32 v93, 0xbf5ff5aa, v125
	v_dual_fmac_f32 v37, 0xbee1c552, v122 :: v_dual_add_f32 v130, v8, v95
	s_delay_alu instid0(VALU_DEP_3) | instskip(NEXT) | instid1(VALU_DEP_3)
	v_fmac_f32_e32 v124, 0xbee1c552, v122
	v_fma_f32 v128, 0x3eae86e6, v106, -v93
	s_delay_alu instid0(VALU_DEP_2) | instskip(NEXT) | instid1(VALU_DEP_2)
	v_dual_sub_f32 v93, v131, v124 :: v_dual_fmamk_f32 v106, v106, 0xbeae86e6, v120
	v_fmac_f32_e32 v128, 0xbee1c552, v126
	s_delay_alu instid0(VALU_DEP_2) | instskip(NEXT) | instid1(VALU_DEP_2)
	v_fmac_f32_e32 v106, 0xbee1c552, v126
	v_add_f32_e32 v92, v128, v130
	s_delay_alu instid0(VALU_DEP_2) | instskip(SKIP_2) | instid1(VALU_DEP_1)
	v_add_f32_e32 v8, v106, v129
	ds_store_2addr_b64 v15, v[8:9], v[92:93] offset0:192 offset1:248
	v_dual_mul_f32 v8, 0x3d64c772, v118 :: v_dual_mul_f32 v9, 0x3d64c772, v121
	v_fma_f32 v8, 0x3f3bfb3b, v107, -v8
	s_delay_alu instid0(VALU_DEP_2) | instskip(NEXT) | instid1(VALU_DEP_2)
	v_fma_f32 v9, 0x3f3bfb3b, v119, -v9
	v_add_f32_e32 v93, v8, v95
	v_fma_f32 v92, 0xbf5ff5aa, v125, -v120
	s_delay_alu instid0(VALU_DEP_3) | instskip(NEXT) | instid1(VALU_DEP_2)
	v_add_f32_e32 v94, v9, v94
	v_dual_add_f32 v95, v105, v103 :: v_dual_fmac_f32 v92, 0xbee1c552, v126
	s_delay_alu instid0(VALU_DEP_2) | instskip(NEXT) | instid1(VALU_DEP_2)
	v_add_f32_e32 v9, v37, v94
	v_sub_f32_e32 v8, v93, v92
	v_add_f32_e32 v92, v92, v93
	v_sub_f32_e32 v93, v94, v37
	;; [unrolled: 2-line block ×4, first 2 shown]
	ds_store_2addr_b64 v116, v[8:9], v[92:93] offset0:48 offset1:104
	v_add_f32_e32 v93, v127, v123
	scratch_load_b32 v123, off, off offset:440 ; 4-byte Folded Reload
	v_dual_sub_f32 v8, v130, v128 :: v_dual_add_f32 v9, v124, v131
	v_sub_f32_e32 v92, v129, v106
	ds_store_2addr_b64 v116, v[8:9], v[92:93] offset0:160 offset1:216
	v_add_f32_e32 v93, v91, v114
	v_sub_f32_e32 v91, v91, v114
	v_dual_sub_f32 v9, v102, v104 :: v_dual_add_f32 v92, v36, v113
	s_delay_alu instid0(VALU_DEP_1) | instskip(SKIP_3) | instid1(VALU_DEP_4)
	v_sub_f32_e32 v111, v9, v91
	v_dual_add_f32 v107, v9, v91 :: v_dual_add_f32 v8, v104, v102
	v_sub_f32_e32 v102, v103, v105
	v_add_f32_e32 v103, v93, v37
	v_dual_mul_f32 v111, 0x3f08b237, v111 :: v_dual_sub_f32 v36, v36, v113
	v_sub_f32_e32 v113, v39, v9
	s_delay_alu instid0(VALU_DEP_4) | instskip(SKIP_4) | instid1(VALU_DEP_3)
	v_add_f32_e32 v9, v102, v38
	v_add_f32_e32 v107, v107, v39
	;; [unrolled: 1-line block ×3, first 2 shown]
	v_sub_f32_e32 v105, v8, v93
	v_fmamk_f32 v121, v113, 0xbeae86e6, v111
	v_dual_add_f32 v115, v9, v36 :: v_dual_add_f32 v2, v2, v103
	v_sub_f32_e32 v104, v37, v8
	s_delay_alu instid0(VALU_DEP_3) | instskip(NEXT) | instid1(VALU_DEP_3)
	v_dual_add_f32 v8, v94, v92 :: v_dual_fmac_f32 v121, 0xbee1c552, v107
	v_dual_sub_f32 v106, v92, v95 :: v_dual_fmamk_f32 v103, v103, 0xbf955555, v2
	s_delay_alu instid0(VALU_DEP_3) | instskip(NEXT) | instid1(VALU_DEP_3)
	v_mul_f32_e32 v104, 0x3f4a47b2, v104
	v_add_f32_e32 v8, v95, v8
	v_sub_f32_e32 v95, v95, v94
	s_delay_alu instid0(VALU_DEP_2) | instskip(SKIP_2) | instid1(VALU_DEP_3)
	v_dual_add_f32 v3, v3, v8 :: v_dual_sub_f32 v114, v102, v38
	v_sub_f32_e32 v102, v36, v102
	v_mul_f32_e32 v106, 0x3f4a47b2, v106
	v_fmamk_f32 v117, v8, 0xbf955555, v3
	s_delay_alu instid0(VALU_DEP_4) | instskip(SKIP_1) | instid1(VALU_DEP_2)
	v_mul_f32_e32 v114, 0x3f08b237, v114
	v_fmamk_f32 v8, v105, 0x3d64c772, v104
	v_fmamk_f32 v120, v102, 0xbeae86e6, v114
	s_delay_alu instid0(VALU_DEP_2) | instskip(SKIP_1) | instid1(VALU_DEP_1)
	v_add_f32_e32 v118, v8, v103
	v_fmamk_f32 v8, v95, 0x3d64c772, v106
	v_dual_fmac_f32 v120, 0xbee1c552, v115 :: v_dual_add_f32 v119, v8, v117
	s_delay_alu instid0(VALU_DEP_1)
	v_dual_add_f32 v8, v120, v118 :: v_dual_sub_f32 v9, v119, v121
	s_waitcnt vmcnt(0)
	v_add_nc_u32_e32 v122, 0x1800, v123
	ds_store_2addr_b64 v122, v[2:3], v[8:9] offset0:16 offset1:72
	v_dual_sub_f32 v8, v91, v39 :: v_dual_sub_f32 v9, v38, v36
	v_dual_sub_f32 v3, v94, v92 :: v_dual_mul_f32 v36, 0x3d64c772, v105
	s_delay_alu instid0(VALU_DEP_2) | instskip(SKIP_1) | instid1(VALU_DEP_2)
	v_fma_f32 v38, 0xbf5ff5aa, v8, -v111
	v_mul_f32_e32 v8, 0xbf5ff5aa, v8
	v_fmac_f32_e32 v38, 0xbee1c552, v107
	s_delay_alu instid0(VALU_DEP_2) | instskip(SKIP_2) | instid1(VALU_DEP_3)
	v_fma_f32 v39, 0x3eae86e6, v113, -v8
	v_dual_sub_f32 v2, v93, v37 :: v_dual_mul_f32 v37, 0x3d64c772, v95
	v_mul_f32_e32 v8, 0xbf5ff5aa, v9
	v_fmac_f32_e32 v39, 0xbee1c552, v107
	s_delay_alu instid0(VALU_DEP_3) | instskip(NEXT) | instid1(VALU_DEP_4)
	v_fma_f32 v36, 0x3f3bfb3b, v2, -v36
	v_fma_f32 v37, 0x3f3bfb3b, v3, -v37
	;; [unrolled: 1-line block ×5, first 2 shown]
	s_delay_alu instid0(VALU_DEP_4) | instskip(SKIP_1) | instid1(VALU_DEP_4)
	v_dual_add_f32 v36, v36, v103 :: v_dual_add_f32 v37, v37, v117
	v_fma_f32 v91, 0xbf5ff5aa, v9, -v114
	v_dual_add_f32 v93, v2, v103 :: v_dual_add_f32 v94, v3, v117
	s_delay_alu instid0(VALU_DEP_3) | instskip(NEXT) | instid1(VALU_DEP_3)
	v_dual_fmac_f32 v92, 0xbee1c552, v115 :: v_dual_add_f32 v9, v38, v37
	v_fmac_f32_e32 v91, 0xbee1c552, v115
	s_delay_alu instid0(VALU_DEP_2) | instskip(NEXT) | instid1(VALU_DEP_2)
	v_dual_sub_f32 v3, v94, v39 :: v_dual_add_f32 v2, v92, v93
	v_sub_f32_e32 v8, v36, v91
	ds_store_2addr_b64 v122, v[2:3], v[8:9] offset0:128 offset1:184
	v_add_f32_e32 v9, v39, v94
	v_add_f32_e32 v39, v90, v108
	v_sub_f32_e32 v90, v90, v108
	scratch_load_b32 v108, off, off offset:444 ; 4-byte Folded Reload
	v_sub_f32_e32 v3, v37, v38
	v_add_f32_e32 v38, v88, v110
	v_add_f32_e32 v2, v91, v36
	v_dual_add_f32 v91, v87, v101 :: v_dual_sub_f32 v8, v93, v92
	v_sub_f32_e32 v88, v88, v110
	v_add_nc_u32_e32 v36, 0x1c00, v123
	ds_store_2addr_b64 v36, v[2:3], v[8:9] offset0:112 offset1:168
	v_dual_add_f32 v8, v75, v109 :: v_dual_add_f32 v9, v89, v112
	v_add_f32_e32 v36, v86, v100
	v_sub_f32_e32 v89, v89, v112
	s_delay_alu instid0(VALU_DEP_3) | instskip(NEXT) | instid1(VALU_DEP_1)
	v_dual_sub_f32 v75, v75, v109 :: v_dual_add_f32 v2, v9, v8
	v_add_f32_e32 v37, v36, v2
	s_waitcnt vmcnt(0)
	v_dual_add_f32 v2, v39, v38 :: v_dual_add_nc_u32 v107, 0x2000, v108
	s_delay_alu instid0(VALU_DEP_1) | instskip(NEXT) | instid1(VALU_DEP_3)
	v_add_f32_e32 v92, v91, v2
	v_add_f32_e32 v2, v4, v37
	s_delay_alu instid0(VALU_DEP_2) | instskip(SKIP_1) | instid1(VALU_DEP_2)
	v_dual_sub_f32 v4, v100, v86 :: v_dual_add_f32 v3, v5, v92
	v_sub_f32_e32 v5, v101, v87
	v_add_f32_e32 v93, v4, v89
	v_dual_sub_f32 v94, v4, v89 :: v_dual_sub_f32 v95, v75, v4
	s_delay_alu instid0(VALU_DEP_4) | instskip(NEXT) | instid1(VALU_DEP_4)
	v_fmamk_f32 v92, v92, 0xbf955555, v3
	v_dual_sub_f32 v100, v5, v90 :: v_dual_sub_f32 v101, v88, v5
	v_add_f32_e32 v4, v5, v90
	s_delay_alu instid0(VALU_DEP_4) | instskip(NEXT) | instid1(VALU_DEP_3)
	v_dual_add_f32 v93, v93, v75 :: v_dual_mul_f32 v94, 0x3f08b237, v94
	v_mul_f32_e32 v100, 0x3f08b237, v100
	s_delay_alu instid0(VALU_DEP_3) | instskip(NEXT) | instid1(VALU_DEP_3)
	v_add_f32_e32 v102, v4, v88
	v_fmamk_f32 v106, v95, 0xbeae86e6, v94
	s_delay_alu instid0(VALU_DEP_3) | instskip(SKIP_1) | instid1(VALU_DEP_3)
	v_fmamk_f32 v105, v101, 0xbeae86e6, v100
	v_sub_f32_e32 v87, v38, v91
	v_dual_sub_f32 v91, v91, v39 :: v_dual_fmac_f32 v106, 0xbee1c552, v93
	s_delay_alu instid0(VALU_DEP_3) | instskip(NEXT) | instid1(VALU_DEP_3)
	v_fmac_f32_e32 v105, 0xbee1c552, v102
	v_dual_mul_f32 v87, 0x3f4a47b2, v87 :: v_dual_sub_f32 v86, v8, v36
	v_dual_sub_f32 v36, v36, v9 :: v_dual_fmamk_f32 v37, v37, 0xbf955555, v2
	s_delay_alu instid0(VALU_DEP_2) | instskip(NEXT) | instid1(VALU_DEP_1)
	v_mul_f32_e32 v86, 0x3f4a47b2, v86
	v_fmamk_f32 v4, v36, 0x3d64c772, v86
	s_delay_alu instid0(VALU_DEP_1) | instskip(NEXT) | instid1(VALU_DEP_1)
	v_dual_add_f32 v103, v4, v37 :: v_dual_fmamk_f32 v4, v91, 0x3d64c772, v87
	v_add_f32_e32 v104, v4, v92
	s_delay_alu instid0(VALU_DEP_1)
	v_dual_add_f32 v4, v105, v103 :: v_dual_sub_f32 v5, v104, v106
	ds_store_2addr_b64 v107, v[2:3], v[4:5] offset0:152 offset1:208
	v_dual_sub_f32 v2, v9, v8 :: v_dual_mul_f32 v9, 0x3d64c772, v91
	v_sub_f32_e32 v5, v90, v88
	scratch_load_b32 v90, off, off offset:448 ; 4-byte Folded Reload
	v_dual_sub_f32 v3, v39, v38 :: v_dual_sub_f32 v4, v89, v75
	v_fma_f32 v39, 0xbf5ff5aa, v5, -v100
	s_delay_alu instid0(VALU_DEP_2) | instskip(SKIP_2) | instid1(VALU_DEP_3)
	v_fma_f32 v9, 0x3f3bfb3b, v3, -v9
	v_fma_f32 v3, 0xbf3bfb3b, v3, -v87
	v_add_nc_u32_e32 v87, 0x2800, v108
	v_add_f32_e32 v9, v9, v92
	v_mul_f32_e32 v8, 0x3d64c772, v36
	v_fma_f32 v36, 0xbf5ff5aa, v4, -v94
	v_mul_f32_e32 v4, 0xbf5ff5aa, v4
	s_delay_alu instid0(VALU_DEP_3) | instskip(SKIP_1) | instid1(VALU_DEP_3)
	v_fma_f32 v8, 0x3f3bfb3b, v2, -v8
	v_fma_f32 v2, 0xbf3bfb3b, v2, -v86
	;; [unrolled: 1-line block ×3, first 2 shown]
	v_mul_f32_e32 v4, 0xbf5ff5aa, v5
	v_add_f32_e32 v86, v3, v92
	v_add_f32_e32 v8, v8, v37
	;; [unrolled: 1-line block ×3, first 2 shown]
	v_fmac_f32_e32 v38, 0xbee1c552, v93
	v_fma_f32 v75, 0x3eae86e6, v101, -v4
	s_delay_alu instid0(VALU_DEP_2) | instskip(NEXT) | instid1(VALU_DEP_2)
	v_dual_fmac_f32 v36, 0xbee1c552, v93 :: v_dual_sub_f32 v3, v86, v38
	v_fmac_f32_e32 v75, 0xbee1c552, v102
	v_fmac_f32_e32 v39, 0xbee1c552, v102
	s_delay_alu instid0(VALU_DEP_3) | instskip(NEXT) | instid1(VALU_DEP_3)
	v_add_f32_e32 v5, v36, v9
	v_add_f32_e32 v2, v75, v37
	s_delay_alu instid0(VALU_DEP_3)
	v_sub_f32_e32 v4, v8, v39
	ds_store_2addr_b64 v87, v[2:3], v[4:5] offset0:8 offset1:64
	v_add_f32_e32 v2, v39, v8
	v_dual_sub_f32 v3, v9, v36 :: v_dual_add_f32 v8, v74, v19
	v_add_f32_e32 v9, v72, v27
	v_sub_f32_e32 v4, v37, v75
	v_add_f32_e32 v36, v85, v25
	v_sub_f32_e32 v25, v25, v85
	v_add_f32_e32 v5, v38, v86
	v_add_f32_e32 v37, v9, v8
	v_sub_f32_e32 v19, v74, v19
	s_delay_alu instid0(VALU_DEP_2) | instskip(NEXT) | instid1(VALU_DEP_1)
	v_add_f32_e32 v37, v36, v37
	v_add_f32_e32 v1, v1, v37
	s_delay_alu instid0(VALU_DEP_1)
	v_fmamk_f32 v37, v37, 0xbf955555, v1
	ds_store_2addr_b64 v87, v[2:3], v[4:5] offset0:120 offset1:176
	v_add_f32_e32 v5, v17, v26
	v_dual_sub_f32 v17, v17, v26 :: v_dual_sub_f32 v26, v72, v27
	v_add_f32_e32 v4, v73, v7
	v_sub_f32_e32 v7, v73, v7
	s_delay_alu instid0(VALU_DEP_3) | instskip(NEXT) | instid1(VALU_DEP_3)
	v_sub_f32_e32 v74, v25, v26
	v_add_f32_e32 v3, v5, v4
	v_add_f32_e32 v73, v25, v26
	s_delay_alu instid0(VALU_DEP_3) | instskip(SKIP_1) | instid1(VALU_DEP_3)
	v_dual_sub_f32 v25, v19, v25 :: v_dual_mul_f32 v74, 0x3f08b237, v74
	v_add_f32_e32 v2, v84, v24
	v_dual_sub_f32 v24, v24, v84 :: v_dual_add_f32 v73, v73, v19
	s_delay_alu instid0(VALU_DEP_3) | instskip(NEXT) | instid1(VALU_DEP_3)
	v_fmamk_f32 v87, v25, 0xbeae86e6, v74
	v_add_f32_e32 v3, v2, v3
	v_dual_sub_f32 v27, v4, v2 :: v_dual_sub_f32 v38, v2, v5
	s_delay_alu instid0(VALU_DEP_4) | instskip(SKIP_1) | instid1(VALU_DEP_4)
	v_add_f32_e32 v39, v24, v17
	v_sub_f32_e32 v72, v24, v17
	v_add_f32_e32 v0, v0, v3
	s_delay_alu instid0(VALU_DEP_4) | instskip(SKIP_4) | instid1(VALU_DEP_4)
	v_mul_f32_e32 v27, 0x3f4a47b2, v27
	v_dual_fmac_f32 v87, 0xbee1c552, v73 :: v_dual_sub_f32 v2, v8, v36
	v_sub_f32_e32 v24, v7, v24
	v_dual_add_f32 v39, v39, v7 :: v_dual_sub_f32 v36, v36, v9
	v_mul_f32_e32 v72, 0x3f08b237, v72
	v_mul_f32_e32 v75, 0x3f4a47b2, v2
	v_fmamk_f32 v2, v38, 0x3d64c772, v27
	s_delay_alu instid0(VALU_DEP_3) | instskip(NEXT) | instid1(VALU_DEP_1)
	v_fmamk_f32 v88, v24, 0xbeae86e6, v72
	v_fmac_f32_e32 v88, 0xbee1c552, v39
	s_waitcnt vmcnt(0)
	v_add_nc_u32_e32 v89, 0x3000, v90
	v_fmamk_f32 v84, v3, 0xbf955555, v0
	s_delay_alu instid0(VALU_DEP_1) | instskip(NEXT) | instid1(VALU_DEP_1)
	v_dual_add_f32 v85, v2, v84 :: v_dual_fmamk_f32 v2, v36, 0x3d64c772, v75
	v_add_f32_e32 v86, v2, v37
	s_delay_alu instid0(VALU_DEP_1)
	v_dual_add_f32 v2, v87, v85 :: v_dual_sub_f32 v3, v86, v88
	ds_store_2addr_b64 v89, v[0:1], v[2:3] offset0:32 offset1:88
	v_sub_f32_e32 v2, v17, v7
	v_sub_f32_e32 v0, v5, v4
	;; [unrolled: 1-line block ×4, first 2 shown]
	s_delay_alu instid0(VALU_DEP_4) | instskip(SKIP_1) | instid1(VALU_DEP_2)
	v_fma_f32 v7, 0xbf5ff5aa, v2, -v72
	v_mul_f32_e32 v2, 0xbf5ff5aa, v2
	v_fmac_f32_e32 v7, 0xbee1c552, v39
	v_mul_f32_e32 v5, 0x3d64c772, v36
	s_delay_alu instid0(VALU_DEP_3) | instskip(SKIP_2) | instid1(VALU_DEP_4)
	v_fma_f32 v8, 0x3eae86e6, v24, -v2
	v_mul_f32_e32 v4, 0x3d64c772, v38
	v_mul_f32_e32 v2, 0xbf5ff5aa, v3
	v_fma_f32 v5, 0x3f3bfb3b, v1, -v5
	v_fma_f32 v1, 0xbf3bfb3b, v1, -v75
	v_fmac_f32_e32 v8, 0xbee1c552, v39
	v_fma_f32 v4, 0x3f3bfb3b, v0, -v4
	v_fma_f32 v0, 0xbf3bfb3b, v0, -v27
	;; [unrolled: 1-line block ×3, first 2 shown]
	v_add_f32_e32 v24, v1, v37
	s_delay_alu instid0(VALU_DEP_4) | instskip(NEXT) | instid1(VALU_DEP_4)
	v_dual_add_f32 v5, v5, v37 :: v_dual_add_f32 v4, v4, v84
	v_add_f32_e32 v19, v0, v84
	s_delay_alu instid0(VALU_DEP_4) | instskip(NEXT) | instid1(VALU_DEP_4)
	v_fmac_f32_e32 v17, 0xbee1c552, v73
	v_sub_f32_e32 v1, v24, v8
	v_fma_f32 v9, 0xbf5ff5aa, v3, -v74
	s_delay_alu instid0(VALU_DEP_3) | instskip(NEXT) | instid1(VALU_DEP_2)
	v_dual_add_f32 v3, v7, v5 :: v_dual_add_f32 v0, v17, v19
	v_fmac_f32_e32 v9, 0xbee1c552, v73
	s_delay_alu instid0(VALU_DEP_1)
	v_sub_f32_e32 v2, v4, v9
	ds_store_2addr_b64 v89, v[0:1], v[2:3] offset0:144 offset1:200
	v_add_f32_e32 v0, v9, v4
	v_dual_sub_f32 v1, v5, v7 :: v_dual_sub_f32 v2, v19, v17
	v_dual_add_f32 v3, v8, v24 :: v_dual_add_nc_u32 v4, 0x3800, v90
	ds_store_2addr_b64 v4, v[0:1], v[2:3] offset1:56
	v_dual_sub_f32 v0, v118, v120 :: v_dual_add_f32 v1, v121, v119
	ds_store_b64 v123, v[0:1] offset:8960
	v_dual_sub_f32 v0, v103, v105 :: v_dual_add_f32 v1, v106, v104
	ds_store_b64 v108, v[0:1] offset:12096
	;; [unrolled: 2-line block ×3, first 2 shown]
	s_waitcnt lgkmcnt(0)
	s_barrier
	buffer_gl0_inv
	ds_load_b64 v[0:1], v255 offset:15232
	s_waitcnt lgkmcnt(0)
	v_mul_f32_e32 v17, v99, v1
	s_delay_alu instid0(VALU_DEP_1) | instskip(SKIP_1) | instid1(VALU_DEP_1)
	v_fmac_f32_e32 v17, v98, v0
	v_mul_f32_e32 v0, v99, v0
	v_fma_f32 v19, v98, v1, -v0
	ds_load_2addr_b64 v[0:3], v12 offset0:176 offset1:232
	s_waitcnt lgkmcnt(0)
	v_mul_f32_e32 v24, v97, v3
	s_delay_alu instid0(VALU_DEP_1) | instskip(NEXT) | instid1(VALU_DEP_1)
	v_dual_mul_f32 v27, v81, v1 :: v_dual_fmac_f32 v24, v96, v2
	v_dual_mul_f32 v2, v97, v2 :: v_dual_fmac_f32 v27, v80, v0
	v_mul_f32_e32 v0, v81, v0
	s_delay_alu instid0(VALU_DEP_2) | instskip(NEXT) | instid1(VALU_DEP_2)
	v_fma_f32 v25, v96, v3, -v2
	v_fma_f32 v26, v80, v1, -v0
	ds_load_2addr_b64 v[0:3], v11 offset1:56
	s_waitcnt lgkmcnt(0)
	v_mul_f32_e32 v39, v83, v3
	s_delay_alu instid0(VALU_DEP_1) | instskip(SKIP_1) | instid1(VALU_DEP_2)
	v_dual_mul_f32 v72, v71, v1 :: v_dual_fmac_f32 v39, v82, v2
	v_mul_f32_e32 v2, v83, v2
	v_fmac_f32_e32 v72, v70, v0
	v_mul_f32_e32 v0, v71, v0
	s_delay_alu instid0(VALU_DEP_3) | instskip(NEXT) | instid1(VALU_DEP_2)
	v_fma_f32 v38, v82, v3, -v2
	v_fma_f32 v70, v70, v1, -v0
	ds_load_2addr_b64 v[0:3], v12 offset0:64 offset1:120
	s_waitcnt lgkmcnt(0)
	v_mul_f32_e32 v71, v69, v3
	s_delay_alu instid0(VALU_DEP_1) | instskip(SKIP_2) | instid1(VALU_DEP_2)
	v_fmac_f32_e32 v71, v68, v2
	v_mul_f32_e32 v2, v69, v2
	v_mul_f32_e32 v69, v65, v1
	v_fma_f32 v68, v68, v3, -v2
	s_delay_alu instid0(VALU_DEP_2) | instskip(SKIP_1) | instid1(VALU_DEP_1)
	v_fmac_f32_e32 v69, v64, v0
	v_mul_f32_e32 v0, v65, v0
	v_fma_f32 v64, v64, v1, -v0
	ds_load_2addr_b64 v[0:3], v10 offset0:144 offset1:200
	s_waitcnt lgkmcnt(0)
	v_mul_f32_e32 v73, v67, v3
	s_delay_alu instid0(VALU_DEP_1) | instskip(SKIP_1) | instid1(VALU_DEP_1)
	v_fmac_f32_e32 v73, v66, v2
	v_mul_f32_e32 v2, v67, v2
	v_fma_f32 v65, v66, v3, -v2
	v_mul_f32_e32 v66, v59, v1
	s_delay_alu instid0(VALU_DEP_1) | instskip(SKIP_1) | instid1(VALU_DEP_1)
	v_fmac_f32_e32 v66, v58, v0
	v_mul_f32_e32 v0, v59, v0
	v_fma_f32 v58, v58, v1, -v0
	ds_load_2addr_b64 v[0:3], v6 offset0:80 offset1:136
	s_waitcnt lgkmcnt(0)
	v_mul_f32_e32 v59, v57, v3
	v_mul_f32_e32 v67, v49, v1
	s_delay_alu instid0(VALU_DEP_2) | instskip(NEXT) | instid1(VALU_DEP_2)
	v_fmac_f32_e32 v59, v56, v2
	v_dual_mul_f32 v2, v57, v2 :: v_dual_fmac_f32 v67, v48, v0
	v_mul_f32_e32 v0, v49, v0
	s_delay_alu instid0(VALU_DEP_2) | instskip(NEXT) | instid1(VALU_DEP_2)
	v_fma_f32 v56, v56, v3, -v2
	v_fma_f32 v57, v48, v1, -v0
	ds_load_2addr_b64 v[0:3], v10 offset0:32 offset1:88
	s_waitcnt lgkmcnt(0)
	v_mul_f32_e32 v75, v51, v3
	v_mul_f32_e32 v81, v43, v1
	s_delay_alu instid0(VALU_DEP_2) | instskip(NEXT) | instid1(VALU_DEP_2)
	v_fmac_f32_e32 v75, v50, v2
	v_dual_mul_f32 v2, v51, v2 :: v_dual_fmac_f32 v81, v42, v0
	v_mul_f32_e32 v0, v43, v0
	s_delay_alu instid0(VALU_DEP_2) | instskip(NEXT) | instid1(VALU_DEP_2)
	v_fma_f32 v74, v50, v3, -v2
	v_fma_f32 v80, v42, v1, -v0
	ds_load_2addr_b64 v[0:3], v13 offset0:96 offset1:152
	s_waitcnt lgkmcnt(0)
	v_dual_mul_f32 v83, v41, v3 :: v_dual_mul_f32 v36, v79, v1
	s_delay_alu instid0(VALU_DEP_1) | instskip(SKIP_1) | instid1(VALU_DEP_3)
	v_fmac_f32_e32 v83, v40, v2
	v_mul_f32_e32 v2, v41, v2
	v_fmac_f32_e32 v36, v78, v0
	s_delay_alu instid0(VALU_DEP_2) | instskip(NEXT) | instid1(VALU_DEP_1)
	v_fma_f32 v82, v40, v3, -v2
	v_dual_mul_f32 v0, v79, v0 :: v_dual_sub_f32 v9, v80, v82
	s_delay_alu instid0(VALU_DEP_1) | instskip(SKIP_3) | instid1(VALU_DEP_1)
	v_fma_f32 v37, v78, v1, -v0
	ds_load_2addr_b64 v[0:3], v116 offset0:160 offset1:216
	s_waitcnt lgkmcnt(0)
	v_mul_f32_e32 v40, v77, v3
	v_dual_mul_f32 v43, v61, v1 :: v_dual_fmac_f32 v40, v76, v2
	s_delay_alu instid0(VALU_DEP_1) | instskip(SKIP_2) | instid1(VALU_DEP_3)
	v_dual_mul_f32 v2, v77, v2 :: v_dual_fmac_f32 v43, v60, v0
	v_mul_f32_e32 v0, v61, v0
	v_sub_f32_e32 v77, v82, v80
	v_fma_f32 v41, v76, v3, -v2
	v_sub_f32_e32 v76, v83, v81
	s_delay_alu instid0(VALU_DEP_4) | instskip(SKIP_3) | instid1(VALU_DEP_1)
	v_fma_f32 v42, v60, v1, -v0
	ds_load_2addr_b64 v[0:3], v18 offset0:112 offset1:168
	s_waitcnt lgkmcnt(0)
	v_mul_f32_e32 v49, v63, v3
	v_dual_mul_f32 v50, v55, v1 :: v_dual_fmac_f32 v49, v62, v2
	v_mul_f32_e32 v2, v63, v2
	s_delay_alu instid0(VALU_DEP_2) | instskip(SKIP_1) | instid1(VALU_DEP_3)
	v_fmac_f32_e32 v50, v54, v0
	v_mul_f32_e32 v0, v55, v0
	v_fma_f32 v48, v62, v3, -v2
	s_delay_alu instid0(VALU_DEP_2) | instskip(SKIP_3) | instid1(VALU_DEP_1)
	v_fma_f32 v51, v54, v1, -v0
	ds_load_2addr_b64 v[0:3], v116 offset0:48 offset1:104
	s_waitcnt lgkmcnt(0)
	v_mul_f32_e32 v54, v53, v3
	v_fmac_f32_e32 v54, v52, v2
	v_mul_f32_e32 v2, v53, v2
	v_mul_f32_e32 v53, v45, v1
	s_delay_alu instid0(VALU_DEP_2) | instskip(NEXT) | instid1(VALU_DEP_2)
	v_fma_f32 v52, v52, v3, -v2
	v_fmac_f32_e32 v53, v44, v0
	v_mul_f32_e32 v0, v45, v0
	s_delay_alu instid0(VALU_DEP_1) | instskip(SKIP_3) | instid1(VALU_DEP_1)
	v_fma_f32 v44, v44, v1, -v0
	ds_load_2addr_b64 v[0:3], v14 offset0:128 offset1:184
	s_waitcnt lgkmcnt(0)
	v_mul_f32_e32 v55, v47, v3
	v_fmac_f32_e32 v55, v46, v2
	v_mul_f32_e32 v2, v47, v2
	s_delay_alu instid0(VALU_DEP_1) | instskip(SKIP_1) | instid1(VALU_DEP_1)
	v_fma_f32 v45, v46, v3, -v2
	v_mul_f32_e32 v46, v35, v1
	v_fmac_f32_e32 v46, v34, v0
	v_mul_f32_e32 v0, v35, v0
	s_delay_alu instid0(VALU_DEP_1) | instskip(SKIP_3) | instid1(VALU_DEP_1)
	v_fma_f32 v34, v34, v1, -v0
	ds_load_2addr_b64 v[0:3], v15 offset0:192 offset1:248
	s_waitcnt lgkmcnt(0)
	v_mul_f32_e32 v35, v33, v3
	v_fmac_f32_e32 v35, v32, v2
	v_mul_f32_e32 v2, v33, v2
	v_mul_f32_e32 v33, v29, v1
	s_delay_alu instid0(VALU_DEP_2) | instskip(NEXT) | instid1(VALU_DEP_2)
	v_fma_f32 v32, v32, v3, -v2
	v_fmac_f32_e32 v33, v28, v0
	v_mul_f32_e32 v0, v29, v0
	s_delay_alu instid0(VALU_DEP_1) | instskip(SKIP_3) | instid1(VALU_DEP_1)
	v_fma_f32 v28, v28, v1, -v0
	ds_load_2addr_b64 v[0:3], v14 offset0:16 offset1:72
	s_waitcnt lgkmcnt(0)
	v_mul_f32_e32 v47, v31, v3
	v_fmac_f32_e32 v47, v30, v2
	v_mul_f32_e32 v2, v31, v2
	s_delay_alu instid0(VALU_DEP_1) | instskip(SKIP_1) | instid1(VALU_DEP_1)
	v_fma_f32 v29, v30, v3, -v2
	v_mul_f32_e32 v30, v23, v1
	v_fmac_f32_e32 v30, v22, v0
	v_mul_f32_e32 v0, v23, v0
	s_delay_alu instid0(VALU_DEP_1) | instskip(SKIP_4) | instid1(VALU_DEP_1)
	v_fma_f32 v22, v22, v1, -v0
	ds_load_2addr_b64 v[0:3], v15 offset0:80 offset1:136
	v_add_f32_e32 v7, v22, v82
	s_waitcnt lgkmcnt(0)
	v_dual_sub_f32 v60, v22, v82 :: v_dual_mul_f32 v23, v21, v3
	v_fmac_f32_e32 v23, v20, v2
	v_mul_f32_e32 v2, v21, v2
	s_delay_alu instid0(VALU_DEP_1) | instskip(NEXT) | instid1(VALU_DEP_3)
	v_fma_f32 v21, v20, v3, -v2
	v_dual_sub_f32 v2, v23, v30 :: v_dual_sub_f32 v3, v81, v83
	s_delay_alu instid0(VALU_DEP_2) | instskip(NEXT) | instid1(VALU_DEP_2)
	v_sub_f32_e32 v8, v21, v22
	v_dual_sub_f32 v61, v21, v80 :: v_dual_add_f32 v20, v2, v3
	ds_load_2addr_b64 v[2:5], v255 offset1:56
	v_sub_f32_e32 v62, v23, v81
	v_add_f32_e32 v31, v8, v9
	s_waitcnt lgkmcnt(0)
	v_fma_f32 v7, -0.5, v7, v3
	s_delay_alu instid0(VALU_DEP_1) | instskip(SKIP_2) | instid1(VALU_DEP_2)
	v_fmamk_f32 v9, v62, 0x3f737871, v7
	v_dual_fmac_f32 v7, 0xbf737871, v62 :: v_dual_add_f32 v6, v30, v83
	v_sub_f32_e32 v63, v30, v83
	v_fma_f32 v6, -0.5, v6, v2
	s_delay_alu instid0(VALU_DEP_2) | instskip(NEXT) | instid1(VALU_DEP_4)
	v_fmac_f32_e32 v9, 0x3f167918, v63
	v_fmac_f32_e32 v7, 0xbf167918, v63
	s_delay_alu instid0(VALU_DEP_3) | instskip(NEXT) | instid1(VALU_DEP_3)
	v_fmamk_f32 v8, v61, 0xbf737871, v6
	v_fmac_f32_e32 v9, 0x3e9e377a, v31
	s_delay_alu instid0(VALU_DEP_3) | instskip(NEXT) | instid1(VALU_DEP_3)
	v_fmac_f32_e32 v7, 0x3e9e377a, v31
	v_dual_sub_f32 v31, v56, v58 :: v_dual_fmac_f32 v8, 0xbf167918, v60
	s_delay_alu instid0(VALU_DEP_1) | instskip(SKIP_2) | instid1(VALU_DEP_1)
	v_fmac_f32_e32 v8, 0x3e9e377a, v20
	ds_store_b64 v255, v[8:9] offset:3136
	v_dual_add_f32 v8, v2, v23 :: v_dual_add_f32 v9, v3, v21
	v_add_f32_e32 v8, v8, v30
	s_delay_alu instid0(VALU_DEP_2) | instskip(SKIP_2) | instid1(VALU_DEP_3)
	v_dual_add_f32 v9, v9, v22 :: v_dual_sub_f32 v30, v30, v23
	v_add_f32_e32 v23, v23, v81
	v_dual_sub_f32 v22, v22, v21 :: v_dual_add_f32 v21, v21, v80
	v_add_f32_e32 v9, v9, v82
	s_delay_alu instid0(VALU_DEP_3) | instskip(SKIP_1) | instid1(VALU_DEP_4)
	v_fma_f32 v2, -0.5, v23, v2
	v_add_f32_e32 v23, v30, v76
	v_fma_f32 v3, -0.5, v21, v3
	s_delay_alu instid0(VALU_DEP_4) | instskip(NEXT) | instid1(VALU_DEP_4)
	v_dual_add_f32 v30, v22, v77 :: v_dual_add_f32 v9, v9, v80
	v_fmamk_f32 v21, v60, 0x3f737871, v2
	v_fmac_f32_e32 v2, 0xbf737871, v60
	s_delay_alu instid0(VALU_DEP_4) | instskip(SKIP_1) | instid1(VALU_DEP_4)
	v_fmamk_f32 v22, v63, 0xbf737871, v3
	v_fmac_f32_e32 v3, 0x3f737871, v63
	v_fmac_f32_e32 v21, 0xbf167918, v61
	s_delay_alu instid0(VALU_DEP_3) | instskip(NEXT) | instid1(VALU_DEP_3)
	v_fmac_f32_e32 v22, 0x3f167918, v62
	v_fmac_f32_e32 v3, 0xbf167918, v62
	s_delay_alu instid0(VALU_DEP_2) | instskip(NEXT) | instid1(VALU_DEP_2)
	v_dual_fmac_f32 v21, 0x3e9e377a, v23 :: v_dual_fmac_f32 v22, 0x3e9e377a, v30
	v_dual_fmac_f32 v3, 0x3e9e377a, v30 :: v_dual_sub_f32 v30, v34, v32
	ds_store_b64 v255, v[21:22] offset:6272
	v_sub_f32_e32 v22, v47, v67
	v_fmac_f32_e32 v2, 0x3f167918, v61
	v_add_f32_e32 v8, v8, v83
	v_dual_sub_f32 v21, v28, v74 :: v_dual_add_f32 v30, v30, v31
	s_delay_alu instid0(VALU_DEP_3) | instskip(SKIP_1) | instid1(VALU_DEP_4)
	v_fmac_f32_e32 v2, 0x3e9e377a, v23
	v_dual_sub_f32 v23, v33, v75 :: v_dual_fmac_f32 v6, 0x3f737871, v61
	v_add_f32_e32 v8, v8, v81
	ds_load_2addr_b64 v[76:79], v255 offset0:112 offset1:168
	ds_load_2addr_b64 v[80:83], v16 offset0:96 offset1:152
	v_fmac_f32_e32 v6, 0x3f167918, v60
	s_delay_alu instid0(VALU_DEP_1)
	v_fmac_f32_e32 v6, 0x3e9e377a, v20
	ds_store_b64 v255, v[2:3] offset:9408
	v_dual_add_f32 v2, v4, v33 :: v_dual_add_f32 v3, v5, v28
	v_sub_f32_e32 v20, v29, v57
	ds_store_b64 v255, v[6:7] offset:12544
	v_sub_f32_e32 v6, v67, v75
	v_dual_add_f32 v2, v2, v47 :: v_dual_add_f32 v3, v3, v29
	s_delay_alu instid0(VALU_DEP_1) | instskip(NEXT) | instid1(VALU_DEP_1)
	v_dual_sub_f32 v7, v57, v74 :: v_dual_add_f32 v2, v2, v67
	v_dual_add_f32 v3, v3, v57 :: v_dual_add_f32 v2, v2, v75
	s_delay_alu instid0(VALU_DEP_1) | instskip(SKIP_3) | instid1(VALU_DEP_2)
	v_add_f32_e32 v3, v3, v74
	ds_store_2addr_b64 v255, v[8:9], v[2:3] offset1:56
	v_add_f32_e32 v2, v47, v67
	v_add_f32_e32 v3, v33, v75
	v_fma_f32 v2, -0.5, v2, v4
	s_delay_alu instid0(VALU_DEP_2) | instskip(SKIP_1) | instid1(VALU_DEP_1)
	v_fma_f32 v4, -0.5, v3, v4
	v_sub_f32_e32 v3, v47, v33
	v_dual_add_f32 v8, v3, v6 :: v_dual_add_f32 v3, v29, v57
	v_add_f32_e32 v6, v28, v74
	s_delay_alu instid0(VALU_DEP_2) | instskip(NEXT) | instid1(VALU_DEP_2)
	v_fma_f32 v3, -0.5, v3, v5
	v_dual_fmac_f32 v5, -0.5, v6 :: v_dual_sub_f32 v6, v29, v28
	s_delay_alu instid0(VALU_DEP_1) | instskip(NEXT) | instid1(VALU_DEP_2)
	v_dual_add_f32 v9, v6, v7 :: v_dual_fmamk_f32 v6, v20, 0x3f737871, v4
	v_dual_fmac_f32 v4, 0xbf737871, v20 :: v_dual_fmamk_f32 v7, v22, 0xbf737871, v5
	v_fmac_f32_e32 v5, 0x3f737871, v22
	s_delay_alu instid0(VALU_DEP_3) | instskip(NEXT) | instid1(VALU_DEP_3)
	v_fmac_f32_e32 v6, 0xbf167918, v21
	v_dual_fmac_f32 v4, 0x3f167918, v21 :: v_dual_fmac_f32 v7, 0x3f167918, v23
	s_delay_alu instid0(VALU_DEP_3) | instskip(NEXT) | instid1(VALU_DEP_3)
	v_fmac_f32_e32 v5, 0xbf167918, v23
	v_fmac_f32_e32 v6, 0x3e9e377a, v8
	s_delay_alu instid0(VALU_DEP_3) | instskip(NEXT) | instid1(VALU_DEP_3)
	v_dual_fmac_f32 v4, 0x3e9e377a, v8 :: v_dual_fmac_f32 v7, 0x3e9e377a, v9
	v_fmac_f32_e32 v5, 0x3e9e377a, v9
	v_sub_f32_e32 v8, v28, v29
	v_dual_sub_f32 v9, v74, v57 :: v_dual_sub_f32 v28, v35, v66
	ds_store_b64 v255, v[6:7] offset:6720
	ds_store_b64 v255, v[4:5] offset:9856
	v_dual_sub_f32 v7, v75, v67 :: v_dual_fmamk_f32 v4, v21, 0xbf737871, v2
	v_dual_fmac_f32 v2, 0x3f737871, v21 :: v_dual_fmamk_f32 v5, v23, 0x3f737871, v3
	v_fmac_f32_e32 v3, 0xbf737871, v23
	v_sub_f32_e32 v29, v46, v59
	v_sub_f32_e32 v6, v33, v47
	s_delay_alu instid0(VALU_DEP_4) | instskip(NEXT) | instid1(VALU_DEP_4)
	v_fmac_f32_e32 v2, 0x3f167918, v20
	v_dual_fmac_f32 v4, 0xbf167918, v20 :: v_dual_fmac_f32 v3, 0xbf167918, v22
	s_delay_alu instid0(VALU_DEP_3) | instskip(SKIP_3) | instid1(VALU_DEP_3)
	v_dual_fmac_f32 v5, 0x3f167918, v22 :: v_dual_add_f32 v6, v6, v7
	v_add_f32_e32 v7, v8, v9
	v_dual_sub_f32 v22, v32, v58 :: v_dual_sub_f32 v23, v34, v56
	v_sub_f32_e32 v8, v46, v35
	v_dual_fmac_f32 v2, 0x3e9e377a, v6 :: v_dual_fmac_f32 v3, 0x3e9e377a, v7
	v_dual_fmac_f32 v4, 0x3e9e377a, v6 :: v_dual_fmac_f32 v5, 0x3e9e377a, v7
	v_dual_sub_f32 v6, v32, v34 :: v_dual_sub_f32 v7, v58, v56
	ds_store_b64 v255, v[2:3] offset:12992
	v_dual_sub_f32 v2, v35, v46 :: v_dual_sub_f32 v3, v66, v59
	v_sub_f32_e32 v9, v59, v66
	v_add_f32_e32 v21, v6, v7
	s_delay_alu instid0(VALU_DEP_3) | instskip(SKIP_3) | instid1(VALU_DEP_2)
	v_add_f32_e32 v20, v2, v3
	v_add_f32_e32 v2, v46, v59
	v_add_f32_e32 v3, v34, v56
	s_waitcnt lgkmcnt(7)
	v_fma_f32 v2, -0.5, v2, v76
	s_delay_alu instid0(VALU_DEP_2) | instskip(NEXT) | instid1(VALU_DEP_2)
	v_fma_f32 v3, -0.5, v3, v77
	v_fmamk_f32 v6, v22, 0xbf737871, v2
	s_delay_alu instid0(VALU_DEP_2) | instskip(SKIP_2) | instid1(VALU_DEP_4)
	v_fmamk_f32 v7, v28, 0x3f737871, v3
	v_fmac_f32_e32 v3, 0xbf737871, v28
	v_fmac_f32_e32 v2, 0x3f737871, v22
	;; [unrolled: 1-line block ×3, first 2 shown]
	s_delay_alu instid0(VALU_DEP_4) | instskip(NEXT) | instid1(VALU_DEP_4)
	v_fmac_f32_e32 v7, 0x3f167918, v29
	v_fmac_f32_e32 v3, 0xbf167918, v29
	s_delay_alu instid0(VALU_DEP_4) | instskip(NEXT) | instid1(VALU_DEP_3)
	v_fmac_f32_e32 v2, 0x3f167918, v23
	v_dual_fmac_f32 v6, 0x3e9e377a, v20 :: v_dual_fmac_f32 v7, 0x3e9e377a, v21
	s_delay_alu instid0(VALU_DEP_3)
	v_fmac_f32_e32 v3, 0x3e9e377a, v21
	v_sub_f32_e32 v21, v44, v65
	ds_store_2addr_b64 v15, v[4:5], v[6:7] offset0:192 offset1:248
	v_add_f32_e32 v6, v35, v66
	v_add_f32_e32 v7, v32, v58
	v_dual_add_f32 v5, v77, v32 :: v_dual_add_f32 v32, v8, v9
	v_add_f32_e32 v4, v76, v35
	s_delay_alu instid0(VALU_DEP_4) | instskip(NEXT) | instid1(VALU_DEP_4)
	v_fma_f32 v6, -0.5, v6, v76
	v_fma_f32 v7, -0.5, v7, v77
	s_delay_alu instid0(VALU_DEP_4) | instskip(NEXT) | instid1(VALU_DEP_4)
	v_add_f32_e32 v5, v5, v34
	v_add_f32_e32 v4, v4, v46
	s_delay_alu instid0(VALU_DEP_4) | instskip(NEXT) | instid1(VALU_DEP_4)
	v_fmamk_f32 v8, v23, 0x3f737871, v6
	v_dual_fmac_f32 v6, 0xbf737871, v23 :: v_dual_fmamk_f32 v9, v29, 0xbf737871, v7
	v_fmac_f32_e32 v7, 0x3f737871, v29
	s_delay_alu instid0(VALU_DEP_4) | instskip(NEXT) | instid1(VALU_DEP_3)
	v_dual_sub_f32 v23, v53, v73 :: v_dual_add_f32 v4, v4, v59
	v_dual_fmac_f32 v6, 0x3f167918, v22 :: v_dual_add_f32 v5, v5, v56
	s_delay_alu instid0(VALU_DEP_3) | instskip(SKIP_1) | instid1(VALU_DEP_4)
	v_fmac_f32_e32 v7, 0xbf167918, v28
	v_sub_f32_e32 v29, v68, v70
	v_add_f32_e32 v4, v4, v66
	s_delay_alu instid0(VALU_DEP_4) | instskip(NEXT) | instid1(VALU_DEP_4)
	v_dual_fmac_f32 v6, 0x3e9e377a, v32 :: v_dual_add_f32 v5, v5, v58
	v_dual_fmac_f32 v7, 0x3e9e377a, v30 :: v_dual_fmac_f32 v2, 0x3e9e377a, v20
	v_sub_f32_e32 v20, v45, v64
	ds_store_b64 v255, v[6:7] offset:10304
	ds_store_b64 v255, v[2:3] offset:13440
	v_dual_add_f32 v2, v78, v53 :: v_dual_add_f32 v3, v79, v44
	s_delay_alu instid0(VALU_DEP_1) | instskip(NEXT) | instid1(VALU_DEP_1)
	v_dual_add_f32 v2, v2, v55 :: v_dual_add_f32 v3, v3, v45
	v_dual_add_f32 v2, v2, v69 :: v_dual_add_f32 v3, v3, v64
	s_delay_alu instid0(VALU_DEP_1) | instskip(NEXT) | instid1(VALU_DEP_2)
	v_add_f32_e32 v2, v2, v73
	v_add_f32_e32 v3, v3, v65
	ds_store_2addr_b64 v255, v[4:5], v[2:3] offset0:112 offset1:168
	v_add_f32_e32 v2, v55, v69
	v_add_f32_e32 v3, v53, v73
	v_sub_f32_e32 v4, v69, v73
	v_sub_f32_e32 v5, v64, v65
	v_fmac_f32_e32 v9, 0x3f167918, v28
	v_fma_f32 v2, -0.5, v2, v78
	v_fma_f32 v78, -0.5, v3, v78
	v_dual_sub_f32 v3, v55, v53 :: v_dual_fmac_f32 v8, 0xbf167918, v22
	v_sub_f32_e32 v22, v55, v69
	v_sub_f32_e32 v28, v51, v52
	s_delay_alu instid0(VALU_DEP_3) | instskip(SKIP_1) | instid1(VALU_DEP_3)
	v_add_f32_e32 v6, v3, v4
	v_dual_add_f32 v3, v45, v64 :: v_dual_add_f32 v4, v44, v65
	v_add_f32_e32 v28, v28, v29
	s_delay_alu instid0(VALU_DEP_2) | instskip(NEXT) | instid1(VALU_DEP_3)
	v_fma_f32 v3, -0.5, v3, v79
	v_fmac_f32_e32 v79, -0.5, v4
	v_sub_f32_e32 v4, v45, v44
	s_delay_alu instid0(VALU_DEP_1) | instskip(SKIP_1) | instid1(VALU_DEP_4)
	v_add_f32_e32 v7, v4, v5
	v_fmamk_f32 v4, v20, 0x3f737871, v78
	v_fmamk_f32 v5, v22, 0xbf737871, v79
	v_fmac_f32_e32 v79, 0x3f737871, v22
	v_fmac_f32_e32 v78, 0xbf737871, v20
	s_delay_alu instid0(VALU_DEP_4) | instskip(NEXT) | instid1(VALU_DEP_4)
	v_fmac_f32_e32 v4, 0xbf167918, v21
	v_fmac_f32_e32 v5, 0x3f167918, v23
	s_delay_alu instid0(VALU_DEP_4) | instskip(SKIP_2) | instid1(VALU_DEP_4)
	v_fmac_f32_e32 v79, 0xbf167918, v23
	v_fmac_f32_e32 v8, 0x3e9e377a, v32
	;; [unrolled: 1-line block ×3, first 2 shown]
	v_dual_fmac_f32 v4, 0x3e9e377a, v6 :: v_dual_fmac_f32 v5, 0x3e9e377a, v7
	s_delay_alu instid0(VALU_DEP_4)
	v_fmac_f32_e32 v79, 0x3e9e377a, v7
	v_sub_f32_e32 v7, v73, v69
	v_fmac_f32_e32 v9, 0x3e9e377a, v30
	ds_store_2addr_b64 v14, v[8:9], v[4:5] offset0:128 offset1:184
	v_fmamk_f32 v4, v21, 0xbf737871, v2
	v_dual_fmac_f32 v2, 0x3f737871, v21 :: v_dual_sub_f32 v9, v65, v64
	v_fmamk_f32 v5, v23, 0x3f737871, v3
	v_fmac_f32_e32 v3, 0xbf737871, v23
	v_dual_sub_f32 v23, v50, v71 :: v_dual_fmac_f32 v78, 0x3e9e377a, v6
	v_sub_f32_e32 v6, v53, v55
	s_delay_alu instid0(VALU_DEP_3) | instskip(SKIP_1) | instid1(VALU_DEP_2)
	v_dual_sub_f32 v8, v44, v45 :: v_dual_fmac_f32 v3, 0xbf167918, v22
	v_dual_fmac_f32 v5, 0x3f167918, v22 :: v_dual_sub_f32 v22, v54, v72
	v_dual_add_f32 v6, v6, v7 :: v_dual_add_f32 v7, v8, v9
	v_fmac_f32_e32 v2, 0x3f167918, v20
	v_fmac_f32_e32 v4, 0xbf167918, v20
	v_dual_sub_f32 v20, v52, v70 :: v_dual_sub_f32 v21, v51, v68
	s_delay_alu instid0(VALU_DEP_3)
	v_dual_fmac_f32 v3, 0x3e9e377a, v7 :: v_dual_fmac_f32 v2, 0x3e9e377a, v6
	ds_store_b64 v255, v[78:79] offset:10752
	v_dual_fmac_f32 v4, 0x3e9e377a, v6 :: v_dual_fmac_f32 v5, 0x3e9e377a, v7
	v_sub_f32_e32 v6, v52, v51
	ds_store_b64 v255, v[2:3] offset:13888
	v_dual_sub_f32 v2, v54, v50 :: v_dual_sub_f32 v3, v72, v71
	v_sub_f32_e32 v7, v70, v68
	s_delay_alu instid0(VALU_DEP_2) | instskip(SKIP_1) | instid1(VALU_DEP_3)
	v_add_f32_e32 v8, v2, v3
	v_dual_add_f32 v2, v50, v71 :: v_dual_add_f32 v3, v51, v68
	v_add_f32_e32 v9, v6, v7
	s_waitcnt lgkmcnt(13)
	s_delay_alu instid0(VALU_DEP_2) | instskip(NEXT) | instid1(VALU_DEP_3)
	v_fma_f32 v2, -0.5, v2, v80
	v_fma_f32 v3, -0.5, v3, v81
	s_delay_alu instid0(VALU_DEP_2) | instskip(NEXT) | instid1(VALU_DEP_2)
	v_fmamk_f32 v6, v20, 0xbf737871, v2
	v_fmamk_f32 v7, v22, 0x3f737871, v3
	v_fmac_f32_e32 v3, 0xbf737871, v22
	v_fmac_f32_e32 v2, 0x3f737871, v20
	s_delay_alu instid0(VALU_DEP_4) | instskip(NEXT) | instid1(VALU_DEP_4)
	v_fmac_f32_e32 v6, 0xbf167918, v21
	v_fmac_f32_e32 v7, 0x3f167918, v23
	s_delay_alu instid0(VALU_DEP_4) | instskip(NEXT) | instid1(VALU_DEP_4)
	v_fmac_f32_e32 v3, 0xbf167918, v23
	v_fmac_f32_e32 v2, 0x3f167918, v21
	s_delay_alu instid0(VALU_DEP_3) | instskip(NEXT) | instid1(VALU_DEP_2)
	v_dual_fmac_f32 v6, 0x3e9e377a, v8 :: v_dual_fmac_f32 v7, 0x3e9e377a, v9
	v_dual_fmac_f32 v3, 0x3e9e377a, v9 :: v_dual_fmac_f32 v2, 0x3e9e377a, v8
	ds_store_2addr_b64 v116, v[4:5], v[6:7] offset0:48 offset1:104
	v_dual_add_f32 v4, v80, v54 :: v_dual_add_f32 v5, v81, v52
	v_dual_add_f32 v6, v82, v43 :: v_dual_add_f32 v7, v83, v42
	ds_store_b64 v255, v[2:3] offset:14336
	v_dual_add_f32 v4, v4, v50 :: v_dual_add_f32 v5, v5, v51
	v_dual_add_f32 v6, v6, v49 :: v_dual_add_f32 v7, v7, v48
	v_add_f32_e32 v2, v49, v27
	s_delay_alu instid0(VALU_DEP_3) | instskip(NEXT) | instid1(VALU_DEP_3)
	v_dual_add_f32 v4, v4, v71 :: v_dual_add_f32 v5, v5, v68
	v_dual_add_f32 v6, v6, v27 :: v_dual_add_f32 v7, v7, v26
	s_delay_alu instid0(VALU_DEP_2) | instskip(NEXT) | instid1(VALU_DEP_2)
	v_dual_add_f32 v3, v43, v39 :: v_dual_add_f32 v4, v4, v72
	v_dual_add_f32 v5, v5, v70 :: v_dual_add_f32 v6, v6, v39
	s_delay_alu instid0(VALU_DEP_3) | instskip(SKIP_1) | instid1(VALU_DEP_4)
	v_add_f32_e32 v7, v7, v38
	v_fma_f32 v2, -0.5, v2, v82
	v_fma_f32 v82, -0.5, v3, v82
	v_sub_f32_e32 v3, v49, v43
	ds_store_2addr_b64 v16, v[4:5], v[6:7] offset0:96 offset1:152
	v_dual_add_f32 v4, v54, v72 :: v_dual_add_f32 v5, v52, v70
	v_dual_sub_f32 v6, v50, v54 :: v_dual_sub_f32 v7, v71, v72
	s_delay_alu instid0(VALU_DEP_2) | instskip(NEXT) | instid1(VALU_DEP_3)
	v_fma_f32 v4, -0.5, v4, v80
	v_fma_f32 v5, -0.5, v5, v81
	s_delay_alu instid0(VALU_DEP_3) | instskip(NEXT) | instid1(VALU_DEP_3)
	v_add_f32_e32 v30, v6, v7
	v_fmamk_f32 v6, v21, 0x3f737871, v4
	s_delay_alu instid0(VALU_DEP_3) | instskip(SKIP_2) | instid1(VALU_DEP_3)
	v_dual_fmac_f32 v4, 0xbf737871, v21 :: v_dual_fmamk_f32 v7, v23, 0xbf737871, v5
	v_fmac_f32_e32 v5, 0x3f737871, v23
	v_sub_f32_e32 v21, v42, v38
	v_dual_sub_f32 v23, v43, v39 :: v_dual_fmac_f32 v4, 0x3f167918, v20
	s_delay_alu instid0(VALU_DEP_3) | instskip(NEXT) | instid1(VALU_DEP_1)
	v_fmac_f32_e32 v5, 0xbf167918, v22
	v_dual_fmac_f32 v4, 0x3e9e377a, v30 :: v_dual_fmac_f32 v5, 0x3e9e377a, v28
	ds_store_b64 v255, v[4:5] offset:11200
	v_dual_sub_f32 v4, v27, v39 :: v_dual_sub_f32 v5, v26, v38
	s_delay_alu instid0(VALU_DEP_1) | instskip(SKIP_1) | instid1(VALU_DEP_2)
	v_dual_add_f32 v8, v3, v4 :: v_dual_add_f32 v3, v48, v26
	v_add_f32_e32 v4, v42, v38
	v_fma_f32 v3, -0.5, v3, v83
	s_delay_alu instid0(VALU_DEP_2) | instskip(NEXT) | instid1(VALU_DEP_1)
	v_dual_fmac_f32 v83, -0.5, v4 :: v_dual_sub_f32 v4, v48, v42
	v_add_f32_e32 v9, v4, v5
	v_dual_fmac_f32 v7, 0x3f167918, v22 :: v_dual_sub_f32 v22, v49, v27
	v_fmac_f32_e32 v6, 0xbf167918, v20
	s_delay_alu instid0(VALU_DEP_2) | instskip(NEXT) | instid1(VALU_DEP_3)
	v_dual_sub_f32 v20, v48, v26 :: v_dual_fmac_f32 v7, 0x3e9e377a, v28
	v_fmamk_f32 v5, v22, 0xbf737871, v83
	s_delay_alu instid0(VALU_DEP_2) | instskip(SKIP_2) | instid1(VALU_DEP_4)
	v_dual_fmac_f32 v83, 0x3f737871, v22 :: v_dual_fmamk_f32 v4, v20, 0x3f737871, v82
	v_fmac_f32_e32 v82, 0xbf737871, v20
	v_fmac_f32_e32 v6, 0x3e9e377a, v30
	;; [unrolled: 1-line block ×3, first 2 shown]
	s_delay_alu instid0(VALU_DEP_4) | instskip(NEXT) | instid1(VALU_DEP_4)
	v_dual_fmac_f32 v83, 0xbf167918, v23 :: v_dual_fmac_f32 v4, 0xbf167918, v21
	v_fmac_f32_e32 v82, 0x3f167918, v21
	s_delay_alu instid0(VALU_DEP_3) | instskip(NEXT) | instid1(VALU_DEP_3)
	v_fmac_f32_e32 v5, 0x3e9e377a, v9
	v_dual_fmac_f32 v83, 0x3e9e377a, v9 :: v_dual_fmac_f32 v4, 0x3e9e377a, v8
	s_delay_alu instid0(VALU_DEP_3)
	v_dual_fmac_f32 v82, 0x3e9e377a, v8 :: v_dual_sub_f32 v9, v38, v26
	ds_store_2addr_b64 v18, v[6:7], v[4:5] offset0:112 offset1:168
	v_dual_sub_f32 v7, v39, v27 :: v_dual_fmamk_f32 v4, v21, 0xbf737871, v2
	v_dual_fmac_f32 v2, 0x3f737871, v21 :: v_dual_fmamk_f32 v5, v23, 0x3f737871, v3
	v_fmac_f32_e32 v3, 0xbf737871, v23
	v_dual_sub_f32 v23, v36, v24 :: v_dual_sub_f32 v6, v43, v49
	s_delay_alu instid0(VALU_DEP_3) | instskip(NEXT) | instid1(VALU_DEP_3)
	v_dual_sub_f32 v8, v42, v48 :: v_dual_fmac_f32 v5, 0x3f167918, v22
	v_dual_fmac_f32 v3, 0xbf167918, v22 :: v_dual_sub_f32 v22, v40, v17
	s_delay_alu instid0(VALU_DEP_2) | instskip(SKIP_4) | instid1(VALU_DEP_4)
	v_dual_add_f32 v6, v6, v7 :: v_dual_add_f32 v7, v8, v9
	v_fmac_f32_e32 v2, 0x3f167918, v20
	v_fmac_f32_e32 v4, 0xbf167918, v20
	v_sub_f32_e32 v20, v41, v19
	v_sub_f32_e32 v21, v37, v25
	v_dual_fmac_f32 v3, 0x3e9e377a, v7 :: v_dual_fmac_f32 v2, 0x3e9e377a, v6
	s_delay_alu instid0(VALU_DEP_4)
	v_dual_fmac_f32 v4, 0x3e9e377a, v6 :: v_dual_fmac_f32 v5, 0x3e9e377a, v7
	v_sub_f32_e32 v6, v41, v37
	v_sub_f32_e32 v7, v19, v25
	ds_store_b64 v255, v[2:3] offset:14784
	v_dual_add_f32 v2, v0, v40 :: v_dual_add_f32 v3, v1, v41
	v_add_f32_e32 v9, v6, v7
	s_delay_alu instid0(VALU_DEP_2) | instskip(NEXT) | instid1(VALU_DEP_1)
	v_dual_add_f32 v2, v2, v36 :: v_dual_add_f32 v3, v3, v37
	v_dual_add_f32 v2, v2, v24 :: v_dual_add_f32 v3, v3, v25
	s_delay_alu instid0(VALU_DEP_1) | instskip(SKIP_4) | instid1(VALU_DEP_1)
	v_dual_add_f32 v2, v2, v17 :: v_dual_add_f32 v3, v3, v19
	ds_store_b64 v255, v[82:83] offset:11648
	ds_store_b64 v255, v[2:3] offset:2688
	v_sub_f32_e32 v2, v40, v36
	v_sub_f32_e32 v3, v17, v24
	v_add_f32_e32 v8, v2, v3
	v_dual_add_f32 v2, v36, v24 :: v_dual_add_f32 v3, v37, v25
	s_delay_alu instid0(VALU_DEP_1) | instskip(NEXT) | instid1(VALU_DEP_2)
	v_fma_f32 v2, -0.5, v2, v0
	v_fma_f32 v3, -0.5, v3, v1
	s_delay_alu instid0(VALU_DEP_2) | instskip(NEXT) | instid1(VALU_DEP_2)
	v_fmamk_f32 v6, v20, 0xbf737871, v2
	v_fmamk_f32 v7, v22, 0x3f737871, v3
	v_fmac_f32_e32 v3, 0xbf737871, v22
	v_fmac_f32_e32 v2, 0x3f737871, v20
	s_delay_alu instid0(VALU_DEP_4) | instskip(NEXT) | instid1(VALU_DEP_4)
	v_fmac_f32_e32 v6, 0xbf167918, v21
	v_fmac_f32_e32 v7, 0x3f167918, v23
	s_delay_alu instid0(VALU_DEP_4) | instskip(NEXT) | instid1(VALU_DEP_4)
	v_fmac_f32_e32 v3, 0xbf167918, v23
	v_fmac_f32_e32 v2, 0x3f167918, v21
	s_delay_alu instid0(VALU_DEP_3) | instskip(NEXT) | instid1(VALU_DEP_2)
	v_dual_fmac_f32 v6, 0x3e9e377a, v8 :: v_dual_fmac_f32 v7, 0x3e9e377a, v9
	v_dual_fmac_f32 v3, 0x3e9e377a, v9 :: v_dual_fmac_f32 v2, 0x3e9e377a, v8
	ds_store_2addr_b64 v116, v[4:5], v[6:7] offset0:160 offset1:216
	v_add_f32_e32 v5, v40, v17
	v_dual_sub_f32 v6, v24, v17 :: v_dual_add_f32 v17, v41, v19
	v_dual_sub_f32 v4, v36, v40 :: v_dual_sub_f32 v7, v37, v41
	s_delay_alu instid0(VALU_DEP_3) | instskip(SKIP_1) | instid1(VALU_DEP_3)
	v_fma_f32 v0, -0.5, v5, v0
	v_sub_f32_e32 v19, v25, v19
	v_dual_fmac_f32 v1, -0.5, v17 :: v_dual_add_f32 v6, v4, v6
	ds_store_b64 v255, v[2:3] offset:15232
	v_fmamk_f32 v4, v21, 0x3f737871, v0
	v_dual_fmac_f32 v0, 0xbf737871, v21 :: v_dual_fmamk_f32 v5, v23, 0xbf737871, v1
	v_fmac_f32_e32 v1, 0x3f737871, v23
	s_delay_alu instid0(VALU_DEP_3) | instskip(NEXT) | instid1(VALU_DEP_3)
	v_dual_add_f32 v7, v7, v19 :: v_dual_fmac_f32 v4, 0xbf167918, v20
	v_dual_fmac_f32 v0, 0x3f167918, v20 :: v_dual_fmac_f32 v5, 0x3f167918, v22
	s_delay_alu instid0(VALU_DEP_3) | instskip(NEXT) | instid1(VALU_DEP_3)
	v_fmac_f32_e32 v1, 0xbf167918, v22
	v_fmac_f32_e32 v4, 0x3e9e377a, v6
	s_delay_alu instid0(VALU_DEP_3) | instskip(NEXT) | instid1(VALU_DEP_3)
	v_dual_fmac_f32 v0, 0x3e9e377a, v6 :: v_dual_fmac_f32 v5, 0x3e9e377a, v7
	v_fmac_f32_e32 v1, 0x3e9e377a, v7
	ds_store_b64 v255, v[4:5] offset:8960
	ds_store_b64 v255, v[0:1] offset:12096
	s_waitcnt lgkmcnt(0)
	s_barrier
	buffer_gl0_inv
	s_clause 0x2
	scratch_load_b64 v[5:6], off, off offset:252
	scratch_load_b64 v[37:38], off, off offset:228
	;; [unrolled: 1-line block ×3, first 2 shown]
	ds_load_2addr_b64 v[1:4], v255 offset1:56
	s_clause 0x2
	scratch_load_b64 v[29:30], off, off offset:204
	scratch_load_b64 v[31:32], off, off offset:244
	;; [unrolled: 1-line block ×3, first 2 shown]
	ds_load_2addr_b64 v[24:27], v12 offset0:190 offset1:246
	s_clause 0x6
	scratch_load_b64 v[47:48], off, off offset:156
	scratch_load_b64 v[49:50], off, off offset:132
	;; [unrolled: 1-line block ×6, first 2 shown]
	scratch_load_b32 v70, off, off offset:8
	s_waitcnt vmcnt(12) lgkmcnt(1)
	v_mul_f32_e32 v0, v6, v2
	s_delay_alu instid0(VALU_DEP_1) | instskip(SKIP_1) | instid1(VALU_DEP_1)
	v_fmac_f32_e32 v0, v5, v1
	v_mul_f32_e32 v1, v6, v1
	v_fma_f32 v1, v5, v2, -v1
	scratch_load_b64 v[5:6], off, off offset:196 ; 8-byte Folded Reload
	s_waitcnt vmcnt(0)
	v_mul_f32_e32 v2, v6, v4
	s_delay_alu instid0(VALU_DEP_1) | instskip(SKIP_1) | instid1(VALU_DEP_1)
	v_fmac_f32_e32 v2, v5, v3
	v_mul_f32_e32 v3, v6, v3
	v_fma_f32 v4, v5, v4, -v3
	v_add_nc_u32_e32 v3, 0xc00, v255
	ds_load_2addr_b64 v[5:8], v3 offset0:106 offset1:162
	s_waitcnt lgkmcnt(0)
	v_mul_f32_e32 v19, v21, v6
	v_mul_f32_e32 v3, v21, v5
	scratch_load_b64 v[21:22], off, off offset:292 ; 8-byte Folded Reload
	v_fmac_f32_e32 v19, v20, v5
	v_fma_f32 v20, v20, v6, -v3
	s_waitcnt vmcnt(0)
	v_mul_f32_e32 v3, v22, v8
	v_mul_f32_e32 v5, v22, v7
	s_delay_alu instid0(VALU_DEP_2) | instskip(NEXT) | instid1(VALU_DEP_2)
	v_fmac_f32_e32 v3, v21, v7
	v_fma_f32 v5, v21, v8, -v5
	ds_load_2addr_b64 v[6:9], v18 offset0:84 offset1:140
	scratch_load_b64 v[17:18], off, off offset:276 ; 8-byte Folded Reload
	s_waitcnt vmcnt(0) lgkmcnt(0)
	v_mul_f32_e32 v21, v18, v7
	s_delay_alu instid0(VALU_DEP_1) | instskip(SKIP_1) | instid1(VALU_DEP_1)
	v_fmac_f32_e32 v21, v17, v6
	v_mul_f32_e32 v6, v18, v6
	v_fma_f32 v22, v17, v7, -v6
	scratch_load_b64 v[17:18], off, off offset:284 ; 8-byte Folded Reload
	s_waitcnt vmcnt(0)
	v_mul_f32_e32 v6, v18, v9
	v_mul_f32_e32 v7, v18, v8
	s_delay_alu instid0(VALU_DEP_2) | instskip(NEXT) | instid1(VALU_DEP_2)
	v_fmac_f32_e32 v6, v17, v8
	v_fma_f32 v7, v17, v9, -v7
	scratch_load_b64 v[17:18], off, off offset:260 ; 8-byte Folded Reload
	s_waitcnt vmcnt(0)
	v_mul_f32_e32 v23, v18, v25
	v_mul_f32_e32 v8, v18, v24
	s_delay_alu instid0(VALU_DEP_2) | instskip(NEXT) | instid1(VALU_DEP_2)
	v_fmac_f32_e32 v23, v17, v24
	;; [unrolled: 7-line block ×3, first 2 shown]
	v_fma_f32 v9, v17, v27, -v9
	ds_load_2addr_b64 v[25:28], v255 offset0:112 offset1:168
	s_waitcnt lgkmcnt(0)
	v_mul_f32_e32 v17, v30, v26
	v_mul_f32_e32 v18, v30, v25
	s_delay_alu instid0(VALU_DEP_2) | instskip(NEXT) | instid1(VALU_DEP_2)
	v_fmac_f32_e32 v17, v29, v25
	v_fma_f32 v18, v29, v26, -v18
	scratch_load_b64 v[29:30], off, off offset:172 ; 8-byte Folded Reload
	s_waitcnt vmcnt(0)
	v_mul_f32_e32 v25, v30, v28
	v_mul_f32_e32 v26, v30, v27
	s_delay_alu instid0(VALU_DEP_2) | instskip(NEXT) | instid1(VALU_DEP_2)
	v_fmac_f32_e32 v25, v29, v27
	v_fma_f32 v26, v29, v28, -v26
	ds_load_2addr_b64 v[27:30], v116 offset0:90 offset1:146
	s_waitcnt lgkmcnt(0)
	v_mul_f32_e32 v34, v32, v28
	s_delay_alu instid0(VALU_DEP_1) | instskip(SKIP_1) | instid1(VALU_DEP_1)
	v_fmac_f32_e32 v34, v31, v27
	v_mul_f32_e32 v27, v32, v27
	v_fma_f32 v35, v31, v28, -v27
	scratch_load_b64 v[31:32], off, off offset:236 ; 8-byte Folded Reload
	s_waitcnt vmcnt(0)
	v_mul_f32_e32 v27, v32, v30
	v_mul_f32_e32 v28, v32, v29
	s_delay_alu instid0(VALU_DEP_2) | instskip(NEXT) | instid1(VALU_DEP_2)
	v_fmac_f32_e32 v27, v31, v29
	v_fma_f32 v28, v31, v30, -v28
	ds_load_2addr_b64 v[29:32], v13 offset0:68 offset1:124
	s_waitcnt lgkmcnt(0)
	v_mul_f32_e32 v36, v38, v30
	s_delay_alu instid0(VALU_DEP_1)
	v_fmac_f32_e32 v36, v37, v29
	v_mul_f32_e32 v29, v38, v29
	scratch_load_b64 v[38:39], off, off offset:220 ; 8-byte Folded Reload
	v_fma_f32 v37, v37, v30, -v29
	s_waitcnt vmcnt(0)
	v_mul_f32_e32 v29, v39, v32
	v_mul_f32_e32 v30, v39, v31
	ds_load_2addr_b64 v[39:42], v10 offset0:46 offset1:102
	v_fmac_f32_e32 v29, v38, v31
	v_fma_f32 v31, v38, v32, -v30
	scratch_load_b64 v[32:33], off, off offset:212 ; 8-byte Folded Reload
	s_waitcnt vmcnt(0) lgkmcnt(0)
	v_mul_f32_e32 v38, v33, v40
	v_mul_f32_e32 v30, v33, v39
	s_delay_alu instid0(VALU_DEP_2) | instskip(NEXT) | instid1(VALU_DEP_2)
	v_fmac_f32_e32 v38, v32, v39
	v_fma_f32 v39, v32, v40, -v30
	v_mul_f32_e32 v30, v44, v42
	v_mul_f32_e32 v32, v44, v41
	scratch_load_b64 v[44:45], off, off offset:164 ; 8-byte Folded Reload
	v_fmac_f32_e32 v30, v43, v41
	v_fma_f32 v32, v43, v42, -v32
	ds_load_2addr_b64 v[40:43], v16 offset0:96 offset1:152
	s_waitcnt vmcnt(0) lgkmcnt(0)
	v_mul_f32_e32 v16, v45, v41
	v_mul_f32_e32 v33, v45, v40
	s_delay_alu instid0(VALU_DEP_2) | instskip(NEXT) | instid1(VALU_DEP_2)
	v_fmac_f32_e32 v16, v44, v40
	v_fma_f32 v33, v44, v41, -v33
	scratch_load_b64 v[44:45], off, off offset:148 ; 8-byte Folded Reload
	s_waitcnt vmcnt(0)
	v_mul_f32_e32 v40, v45, v43
	v_mul_f32_e32 v41, v45, v42
	s_delay_alu instid0(VALU_DEP_2) | instskip(SKIP_1) | instid1(VALU_DEP_3)
	v_fmac_f32_e32 v40, v44, v42
	v_add_nc_u32_e32 v42, 0x1400, v255
	v_fma_f32 v41, v44, v43, -v41
	ds_load_2addr_b64 v[43:46], v42 offset0:74 offset1:130
	s_waitcnt lgkmcnt(0)
	v_mul_f32_e32 v42, v48, v44
	s_delay_alu instid0(VALU_DEP_1) | instskip(SKIP_1) | instid1(VALU_DEP_1)
	v_fmac_f32_e32 v42, v47, v43
	v_dual_mul_f32 v43, v48, v43 :: v_dual_mul_f32 v48, v50, v46
	v_fma_f32 v43, v47, v44, -v43
	v_mul_f32_e32 v44, v50, v45
	s_delay_alu instid0(VALU_DEP_3) | instskip(NEXT) | instid1(VALU_DEP_2)
	v_fmac_f32_e32 v48, v49, v45
	v_fma_f32 v49, v49, v46, -v44
	ds_load_2addr_b64 v[44:47], v13 offset0:180 offset1:236
	s_waitcnt lgkmcnt(0)
	v_mul_f32_e32 v50, v52, v45
	v_mul_f32_e32 v13, v52, v44
	s_delay_alu instid0(VALU_DEP_2) | instskip(NEXT) | instid1(VALU_DEP_2)
	v_fmac_f32_e32 v50, v51, v44
	v_fma_f32 v51, v51, v45, -v13
	scratch_load_b64 v[44:45], off, off offset:108 ; 8-byte Folded Reload
	s_waitcnt vmcnt(0)
	v_mul_f32_e32 v52, v45, v47
	v_mul_f32_e32 v13, v45, v46
	s_delay_alu instid0(VALU_DEP_2) | instskip(NEXT) | instid1(VALU_DEP_2)
	v_fmac_f32_e32 v52, v44, v46
	v_fma_f32 v53, v44, v47, -v13
	ds_load_2addr_b64 v[44:47], v10 offset0:158 offset1:214
	s_waitcnt lgkmcnt(0)
	v_mul_f32_e32 v54, v56, v45
	v_mul_f32_e32 v10, v56, v44
	s_delay_alu instid0(VALU_DEP_2) | instskip(NEXT) | instid1(VALU_DEP_2)
	v_fmac_f32_e32 v54, v55, v44
	v_fma_f32 v55, v55, v45, -v10
	scratch_load_b64 v[44:45], off, off offset:68 ; 8-byte Folded Reload
	s_waitcnt vmcnt(0)
	v_mul_f32_e32 v56, v45, v47
	v_mul_f32_e32 v10, v45, v46
	s_delay_alu instid0(VALU_DEP_2) | instskip(NEXT) | instid1(VALU_DEP_2)
	;; [unrolled: 14-line block ×3, first 2 shown]
	v_fmac_f32_e32 v60, v44, v46
	v_fma_f32 v61, v44, v47, -v10
	ds_load_2addr_b64 v[44:47], v14 offset0:58 offset1:114
	scratch_load_b64 v[13:14], off, off offset:52 ; 8-byte Folded Reload
	s_waitcnt vmcnt(0) lgkmcnt(0)
	v_mul_f32_e32 v62, v14, v45
	v_mul_f32_e32 v10, v14, v44
	s_delay_alu instid0(VALU_DEP_2) | instskip(NEXT) | instid1(VALU_DEP_2)
	v_fmac_f32_e32 v62, v13, v44
	v_fma_f32 v44, v13, v45, -v10
	scratch_load_b64 v[13:14], off, off offset:92 ; 8-byte Folded Reload
	s_waitcnt vmcnt(0)
	v_mul_f32_e32 v45, v14, v47
	v_mul_f32_e32 v10, v14, v46
	s_delay_alu instid0(VALU_DEP_2) | instskip(NEXT) | instid1(VALU_DEP_2)
	v_fmac_f32_e32 v45, v13, v46
	v_fma_f32 v46, v13, v47, -v10
	ds_load_2addr_b64 v[12:15], v12 offset0:36 offset1:92
	s_waitcnt lgkmcnt(0)
	v_mul_f32_e32 v47, v64, v13
	v_mul_f32_e32 v10, v64, v12
	s_delay_alu instid0(VALU_DEP_2) | instskip(NEXT) | instid1(VALU_DEP_2)
	v_fmac_f32_e32 v47, v63, v12
	v_fma_f32 v63, v63, v13, -v10
	scratch_load_b64 v[12:13], off, off offset:124 ; 8-byte Folded Reload
	s_waitcnt vmcnt(0)
	v_mul_f32_e32 v64, v13, v15
	v_mul_f32_e32 v10, v13, v14
	s_delay_alu instid0(VALU_DEP_2) | instskip(NEXT) | instid1(VALU_DEP_2)
	v_fmac_f32_e32 v64, v12, v14
	v_fma_f32 v65, v12, v15, -v10
	scratch_load_b64 v[14:15], off, off offset:84 ; 8-byte Folded Reload
	ds_load_2addr_b64 v[10:13], v11 offset0:14 offset1:70
	s_waitcnt vmcnt(0) lgkmcnt(0)
	v_mul_f32_e32 v66, v15, v11
	s_delay_alu instid0(VALU_DEP_1) | instskip(SKIP_1) | instid1(VALU_DEP_1)
	v_fmac_f32_e32 v66, v14, v10
	v_mul_f32_e32 v10, v15, v10
	v_fma_f32 v67, v14, v11, -v10
	scratch_load_b64 v[14:15], off, off offset:100 ; 8-byte Folded Reload
	s_waitcnt vmcnt(0)
	v_mul_f32_e32 v10, v15, v12
	v_mul_f32_e32 v68, v15, v13
	s_delay_alu instid0(VALU_DEP_2) | instskip(SKIP_4) | instid1(VALU_DEP_1)
	v_fma_f32 v69, v14, v13, -v10
	scratch_load_b64 v[10:11], off, off offset:364 ; 8-byte Folded Reload
	v_fmac_f32_e32 v68, v14, v12
	s_waitcnt vmcnt(0)
	v_mov_b32_e32 v14, v10
	v_mad_u64_u32 v[10:11], null, s6, v14, 0
	s_delay_alu instid0(VALU_DEP_1) | instskip(NEXT) | instid1(VALU_DEP_1)
	v_mad_u64_u32 v[12:13], null, s7, v14, v[11:12]
	v_mov_b32_e32 v11, v12
	v_cvt_f64_f32_e32 v[12:13], v0
	v_cvt_f64_f32_e32 v[0:1], v1
	s_delay_alu instid0(VALU_DEP_3) | instskip(NEXT) | instid1(VALU_DEP_1)
	v_lshlrev_b64 v[10:11], 3, v[10:11]
	v_add_co_u32 v10, s0, s10, v10
	s_delay_alu instid0(VALU_DEP_1) | instskip(SKIP_2) | instid1(VALU_DEP_2)
	v_add_co_ci_u32_e64 v11, s0, s11, v11, s0
	v_mul_f64 v[12:13], v[12:13], s[2:3]
	v_mul_f64 v[0:1], v[0:1], s[2:3]
	v_cvt_f32_f64_e32 v12, v[12:13]
	s_delay_alu instid0(VALU_DEP_2) | instskip(SKIP_1) | instid1(VALU_DEP_1)
	v_cvt_f32_f64_e32 v13, v[0:1]
	v_mad_u64_u32 v[0:1], null, s4, v70, 0
	v_mad_u64_u32 v[14:15], null, s5, v70, v[1:2]
	s_delay_alu instid0(VALU_DEP_1) | instskip(SKIP_2) | instid1(VALU_DEP_3)
	v_mov_b32_e32 v1, v14
	v_cvt_f64_f32_e32 v[14:15], v19
	v_cvt_f64_f32_e32 v[19:20], v20
	v_lshlrev_b64 v[0:1], 3, v[0:1]
	s_delay_alu instid0(VALU_DEP_1) | instskip(NEXT) | instid1(VALU_DEP_1)
	v_add_co_u32 v0, s0, v10, v0
	v_add_co_ci_u32_e64 v1, s0, v11, v1, s0
	s_mul_i32 s0, s5, 0x1ea
	s_delay_alu instid0(SALU_CYCLE_1) | instskip(SKIP_1) | instid1(SALU_CYCLE_1)
	s_add_i32 s1, s1, s0
	s_mul_i32 s0, s4, 0x1ea
	s_lshl_b64 s[6:7], s[0:1], 3
	global_store_b64 v[0:1], v[12:13], off
	v_add_co_u32 v0, s0, v0, s6
	s_delay_alu instid0(VALU_DEP_1)
	v_add_co_ci_u32_e64 v1, s0, s7, v1, s0
	v_cvt_f64_f32_e32 v[12:13], v2
	v_cvt_f64_f32_e32 v[2:3], v3
	s_mul_i32 s1, s5, 0xffffd3d0
	v_mul_f64 v[14:15], v[14:15], s[2:3]
	v_mul_f64 v[19:20], v[19:20], s[2:3]
	s_delay_alu instid0(VALU_DEP_4) | instskip(NEXT) | instid1(VALU_DEP_4)
	v_mul_f64 v[12:13], v[12:13], s[2:3]
	v_mul_f64 v[2:3], v[2:3], s[2:3]
	s_delay_alu instid0(VALU_DEP_4) | instskip(NEXT) | instid1(VALU_DEP_4)
	v_cvt_f32_f64_e32 v14, v[14:15]
	v_cvt_f32_f64_e32 v15, v[19:20]
	v_cvt_f64_f32_e32 v[19:20], v21
	v_cvt_f64_f32_e32 v[21:22], v22
	v_cvt_f32_f64_e32 v12, v[12:13]
	v_cvt_f32_f64_e32 v2, v[2:3]
	global_store_b64 v[0:1], v[14:15], off
	v_cvt_f64_f32_e32 v[14:15], v4
	v_cvt_f64_f32_e32 v[4:5], v5
	v_mul_f64 v[19:20], v[19:20], s[2:3]
	v_mul_f64 v[21:22], v[21:22], s[2:3]
	v_add_co_u32 v0, s0, v0, s6
	s_delay_alu instid0(VALU_DEP_1)
	v_add_co_ci_u32_e64 v1, s0, s7, v1, s0
	v_mul_f64 v[14:15], v[14:15], s[2:3]
	v_mul_f64 v[4:5], v[4:5], s[2:3]
	v_cvt_f32_f64_e32 v19, v[19:20]
	v_cvt_f32_f64_e32 v20, v[21:22]
	v_cvt_f64_f32_e32 v[21:22], v23
	v_cvt_f64_f32_e32 v[23:24], v24
	v_cvt_f32_f64_e32 v13, v[14:15]
	v_cvt_f32_f64_e32 v3, v[4:5]
	v_cvt_f64_f32_e32 v[4:5], v6
	v_cvt_f64_f32_e32 v[6:7], v7
	v_mul_f64 v[21:22], v[21:22], s[2:3]
	v_mul_f64 v[23:24], v[23:24], s[2:3]
	global_store_b64 v[0:1], v[19:20], off
	v_add_co_u32 v0, s0, v0, s6
	s_delay_alu instid0(VALU_DEP_1)
	v_add_co_ci_u32_e64 v1, s0, s7, v1, s0
	s_mul_hi_u32 s0, s4, 0xffffd3d0
	v_cvt_f64_f32_e32 v[14:15], v18
	s_sub_i32 s0, s0, s4
	v_cvt_f64_f32_e32 v[18:19], v58
	s_add_i32 s1, s0, s1
	v_mul_f64 v[4:5], v[4:5], s[2:3]
	v_mul_f64 v[6:7], v[6:7], s[2:3]
	v_cvt_f32_f64_e32 v21, v[21:22]
	v_cvt_f32_f64_e32 v22, v[23:24]
	v_mul_f64 v[14:15], v[14:15], s[2:3]
	v_mul_f64 v[18:19], v[18:19], s[2:3]
	v_cvt_f32_f64_e32 v4, v[4:5]
	v_cvt_f32_f64_e32 v5, v[6:7]
	v_cvt_f64_f32_e32 v[6:7], v8
	v_cvt_f64_f32_e32 v[8:9], v9
	global_store_b64 v[0:1], v[21:22], off
	v_add_co_u32 v0, s0, v0, s8
	s_delay_alu instid0(VALU_DEP_1) | instskip(SKIP_4) | instid1(VALU_DEP_1)
	v_add_co_ci_u32_e64 v1, s0, s1, v1, s0
	v_cvt_f64_f32_e32 v[20:21], v59
	v_cvt_f64_f32_e32 v[22:23], v44
	global_store_b64 v[0:1], v[12:13], off
	v_add_co_u32 v0, s0, v0, s6
	v_add_co_ci_u32_e64 v1, s0, s7, v1, s0
	v_cvt_f64_f32_e32 v[12:13], v28
	v_cvt_f32_f64_e32 v18, v[18:19]
	global_store_b64 v[0:1], v[2:3], off
	v_add_co_u32 v0, s0, v0, s6
	s_delay_alu instid0(VALU_DEP_1)
	v_add_co_ci_u32_e64 v1, s0, s7, v1, s0
	v_cvt_f64_f32_e32 v[2:3], v34
	global_store_b64 v[0:1], v[4:5], off
	v_mul_f64 v[6:7], v[6:7], s[2:3]
	v_mul_f64 v[8:9], v[8:9], s[2:3]
	v_cvt_f64_f32_e32 v[4:5], v35
	v_add_co_u32 v0, s0, v0, s6
	s_delay_alu instid0(VALU_DEP_1)
	v_add_co_ci_u32_e64 v1, s0, s7, v1, s0
	v_mul_f64 v[20:21], v[20:21], s[2:3]
	v_mul_f64 v[22:23], v[22:23], s[2:3]
	v_cvt_f64_f32_e32 v[34:35], v69
	v_mul_f64 v[12:13], v[12:13], s[2:3]
	v_mul_f64 v[2:3], v[2:3], s[2:3]
	v_cvt_f32_f64_e32 v6, v[6:7]
	v_cvt_f32_f64_e32 v7, v[8:9]
	v_cvt_f64_f32_e32 v[8:9], v17
	v_mul_f64 v[4:5], v[4:5], s[2:3]
	v_cvt_f32_f64_e32 v19, v[20:21]
	v_cvt_f64_f32_e32 v[20:21], v45
	v_mul_f64 v[34:35], v[34:35], s[2:3]
	v_cvt_f32_f64_e32 v2, v[2:3]
	global_store_b64 v[0:1], v[6:7], off
	v_mul_f64 v[8:9], v[8:9], s[2:3]
	v_cvt_f32_f64_e32 v3, v[4:5]
	v_cvt_f64_f32_e32 v[4:5], v36
	v_cvt_f64_f32_e32 v[6:7], v37
	v_add_co_u32 v0, s0, v0, s8
	s_delay_alu instid0(VALU_DEP_1)
	v_add_co_ci_u32_e64 v1, s0, s1, v1, s0
	v_mul_f64 v[20:21], v[20:21], s[2:3]
	v_cvt_f32_f64_e32 v8, v[8:9]
	v_cvt_f32_f64_e32 v9, v[14:15]
	v_mul_f64 v[4:5], v[4:5], s[2:3]
	v_mul_f64 v[6:7], v[6:7], s[2:3]
	v_cvt_f64_f32_e32 v[14:15], v31
	v_cvt_f32_f64_e32 v20, v[20:21]
	global_store_b64 v[0:1], v[8:9], off
	v_add_co_u32 v0, s0, v0, s6
	s_delay_alu instid0(VALU_DEP_1)
	v_add_co_ci_u32_e64 v1, s0, s7, v1, s0
	v_cvt_f32_f64_e32 v4, v[4:5]
	v_cvt_f32_f64_e32 v5, v[6:7]
	v_cvt_f64_f32_e32 v[6:7], v39
	global_store_b64 v[0:1], v[2:3], off
	v_cvt_f64_f32_e32 v[2:3], v38
	v_cvt_f64_f32_e32 v[8:9], v26
	v_mul_f64 v[14:15], v[14:15], s[2:3]
	v_add_co_u32 v0, s0, v0, s6
	s_delay_alu instid0(VALU_DEP_1)
	v_add_co_ci_u32_e64 v1, s0, s7, v1, s0
	global_store_b64 v[0:1], v[4:5], off
	v_mul_f64 v[6:7], v[6:7], s[2:3]
	v_cvt_f64_f32_e32 v[4:5], v30
	v_mul_f64 v[2:3], v[2:3], s[2:3]
	v_mul_f64 v[8:9], v[8:9], s[2:3]
	v_add_co_u32 v0, s0, v0, s6
	s_delay_alu instid0(VALU_DEP_1)
	v_add_co_ci_u32_e64 v1, s0, s7, v1, s0
	v_cvt_f64_f32_e32 v[30:31], v46
	v_mul_f64 v[4:5], v[4:5], s[2:3]
	v_cvt_f32_f64_e32 v2, v[2:3]
	v_cvt_f32_f64_e32 v3, v[6:7]
	v_cvt_f64_f32_e32 v[6:7], v25
	v_cvt_f64_f32_e32 v[24:25], v63
	v_mul_f64 v[30:31], v[30:31], s[2:3]
	v_cvt_f32_f64_e32 v4, v[4:5]
	global_store_b64 v[0:1], v[2:3], off
	v_mul_f64 v[6:7], v[6:7], s[2:3]
	v_cvt_f64_f32_e32 v[2:3], v16
	v_add_co_u32 v0, s0, v0, s8
	s_delay_alu instid0(VALU_DEP_1)
	v_add_co_ci_u32_e64 v1, s0, s1, v1, s0
	v_cvt_f64_f32_e32 v[16:17], v56
	v_mul_f64 v[24:25], v[24:25], s[2:3]
	v_cvt_f32_f64_e32 v21, v[30:31]
	v_cvt_f32_f64_e32 v6, v[6:7]
	;; [unrolled: 1-line block ×3, first 2 shown]
	v_cvt_f64_f32_e32 v[8:9], v27
	v_mul_f64 v[2:3], v[2:3], s[2:3]
	v_cvt_f64_f32_e32 v[26:27], v67
	v_mul_f64 v[16:17], v[16:17], s[2:3]
	global_store_b64 v[0:1], v[6:7], off
	v_mul_f64 v[8:9], v[8:9], s[2:3]
	v_cvt_f32_f64_e32 v2, v[2:3]
	v_add_co_u32 v0, s0, v0, s6
	s_delay_alu instid0(VALU_DEP_1)
	v_add_co_ci_u32_e64 v1, s0, s7, v1, s0
	v_cvt_f64_f32_e32 v[6:7], v51
	v_cvt_f32_f64_e32 v16, v[16:17]
	v_mul_f64 v[26:27], v[26:27], s[2:3]
	v_cvt_f32_f64_e32 v8, v[8:9]
	v_cvt_f32_f64_e32 v9, v[12:13]
	v_cvt_f64_f32_e32 v[12:13], v29
	v_cvt_f64_f32_e32 v[28:29], v61
	v_mul_f64 v[6:7], v[6:7], s[2:3]
	global_store_b64 v[0:1], v[8:9], off
	v_mul_f64 v[12:13], v[12:13], s[2:3]
	v_add_co_u32 v0, s0, v0, s6
	s_delay_alu instid0(VALU_DEP_1)
	v_add_co_ci_u32_e64 v1, s0, s7, v1, s0
	v_cvt_f64_f32_e32 v[8:9], v55
	v_mul_f64 v[28:29], v[28:29], s[2:3]
	v_cvt_f32_f64_e32 v12, v[12:13]
	v_cvt_f32_f64_e32 v13, v[14:15]
	v_cvt_f64_f32_e32 v[14:15], v32
	v_mul_f64 v[8:9], v[8:9], s[2:3]
	global_store_b64 v[0:1], v[12:13], off
	v_mul_f64 v[14:15], v[14:15], s[2:3]
	v_add_co_u32 v0, s0, v0, s6
	s_delay_alu instid0(VALU_DEP_1) | instskip(SKIP_1) | instid1(VALU_DEP_4)
	v_add_co_ci_u32_e64 v1, s0, s7, v1, s0
	v_cvt_f64_f32_e32 v[12:13], v41
	v_cvt_f32_f64_e32 v5, v[14:15]
	v_cvt_f64_f32_e32 v[14:15], v33
	v_cvt_f64_f32_e32 v[32:33], v65
	s_delay_alu instid0(VALU_DEP_4) | instskip(SKIP_3) | instid1(VALU_DEP_1)
	v_mul_f64 v[12:13], v[12:13], s[2:3]
	global_store_b64 v[0:1], v[4:5], off
	v_mul_f64 v[14:15], v[14:15], s[2:3]
	v_add_co_u32 v0, s0, v0, s8
	v_add_co_ci_u32_e64 v1, s0, s1, v1, s0
	v_cvt_f64_f32_e32 v[4:5], v43
	v_mul_f64 v[32:33], v[32:33], s[2:3]
	v_cvt_f32_f64_e32 v3, v[14:15]
	v_cvt_f64_f32_e32 v[14:15], v49
	s_delay_alu instid0(VALU_DEP_4) | instskip(SKIP_4) | instid1(VALU_DEP_1)
	v_mul_f64 v[4:5], v[4:5], s[2:3]
	global_store_b64 v[0:1], v[2:3], off
	v_cvt_f64_f32_e32 v[2:3], v42
	v_mul_f64 v[14:15], v[14:15], s[2:3]
	v_add_co_u32 v0, s0, v0, s6
	v_add_co_ci_u32_e64 v1, s0, s7, v1, s0
	s_delay_alu instid0(VALU_DEP_4) | instskip(NEXT) | instid1(VALU_DEP_1)
	v_mul_f64 v[2:3], v[2:3], s[2:3]
	v_cvt_f32_f64_e32 v2, v[2:3]
	v_cvt_f32_f64_e32 v3, v[4:5]
	v_cvt_f64_f32_e32 v[4:5], v50
	global_store_b64 v[0:1], v[2:3], off
	v_mul_f64 v[4:5], v[4:5], s[2:3]
	v_add_co_u32 v0, s0, v0, s6
	s_delay_alu instid0(VALU_DEP_1) | instskip(NEXT) | instid1(VALU_DEP_2)
	v_add_co_ci_u32_e64 v1, s0, s7, v1, s0
	v_add_co_u32 v2, s0, v0, s6
	s_delay_alu instid0(VALU_DEP_1)
	v_add_co_ci_u32_e64 v3, s0, s7, v1, s0
	v_cvt_f32_f64_e32 v4, v[4:5]
	v_cvt_f32_f64_e32 v5, v[6:7]
	v_cvt_f64_f32_e32 v[6:7], v54
	global_store_b64 v[0:1], v[4:5], off
	v_mul_f64 v[6:7], v[6:7], s[2:3]
	v_cvt_f64_f32_e32 v[0:1], v52
	v_cvt_f64_f32_e32 v[4:5], v53
	s_delay_alu instid0(VALU_DEP_3)
	v_cvt_f32_f64_e32 v6, v[6:7]
	v_cvt_f32_f64_e32 v7, v[8:9]
	v_cvt_f64_f32_e32 v[8:9], v40
	v_mul_f64 v[0:1], v[0:1], s[2:3]
	v_mul_f64 v[4:5], v[4:5], s[2:3]
	global_store_b64 v[2:3], v[6:7], off
	v_mul_f64 v[8:9], v[8:9], s[2:3]
	v_cvt_f64_f32_e32 v[6:7], v57
	v_add_co_u32 v2, s0, v2, s8
	s_delay_alu instid0(VALU_DEP_1)
	v_add_co_ci_u32_e64 v3, s0, s1, v3, s0
	v_cvt_f32_f64_e32 v0, v[0:1]
	v_cvt_f32_f64_e32 v1, v[4:5]
	v_cvt_f64_f32_e32 v[4:5], v66
	v_cvt_f32_f64_e32 v8, v[8:9]
	v_cvt_f32_f64_e32 v9, v[12:13]
	v_cvt_f64_f32_e32 v[12:13], v48
	v_mul_f64 v[6:7], v[6:7], s[2:3]
	v_mul_f64 v[4:5], v[4:5], s[2:3]
	global_store_b64 v[2:3], v[8:9], off
	v_mul_f64 v[12:13], v[12:13], s[2:3]
	v_cvt_f64_f32_e32 v[8:9], v62
	v_cvt_f32_f64_e32 v17, v[6:7]
	v_cvt_f64_f32_e32 v[6:7], v60
	v_add_co_u32 v2, s0, v2, s6
	s_delay_alu instid0(VALU_DEP_1) | instskip(SKIP_2) | instid1(VALU_DEP_4)
	v_add_co_ci_u32_e64 v3, s0, s7, v3, s0
	v_cvt_f32_f64_e32 v4, v[4:5]
	v_cvt_f32_f64_e32 v5, v[26:27]
	v_add_co_u32 v26, s0, v2, s6
	s_delay_alu instid0(VALU_DEP_1)
	v_add_co_ci_u32_e64 v27, s0, s7, v3, s0
	v_cvt_f32_f64_e32 v12, v[12:13]
	v_cvt_f32_f64_e32 v13, v[14:15]
	v_cvt_f64_f32_e32 v[14:15], v47
	v_mul_f64 v[8:9], v[8:9], s[2:3]
	v_mul_f64 v[6:7], v[6:7], s[2:3]
	global_store_b64 v[2:3], v[12:13], off
	v_mul_f64 v[14:15], v[14:15], s[2:3]
	v_cvt_f32_f64_e32 v8, v[8:9]
	v_cvt_f32_f64_e32 v9, v[22:23]
	v_cvt_f64_f32_e32 v[22:23], v64
	v_cvt_f32_f64_e32 v6, v[6:7]
	v_cvt_f32_f64_e32 v7, v[28:29]
	v_add_co_u32 v28, s0, v26, s6
	s_delay_alu instid0(VALU_DEP_1) | instskip(SKIP_2) | instid1(VALU_DEP_1)
	v_add_co_ci_u32_e64 v29, s0, s7, v27, s0
	global_store_b64 v[26:27], v[0:1], off
	v_add_co_u32 v30, s0, v28, s8
	v_add_co_ci_u32_e64 v31, s0, s1, v29, s0
	global_store_b64 v[28:29], v[16:17], off
	global_store_b64 v[30:31], v[18:19], off
	v_cvt_f32_f64_e32 v14, v[14:15]
	v_cvt_f32_f64_e32 v15, v[24:25]
	v_cvt_f64_f32_e32 v[24:25], v68
	v_mul_f64 v[22:23], v[22:23], s[2:3]
	s_delay_alu instid0(VALU_DEP_2) | instskip(NEXT) | instid1(VALU_DEP_2)
	v_mul_f64 v[24:25], v[24:25], s[2:3]
	v_cvt_f32_f64_e32 v22, v[22:23]
	v_cvt_f32_f64_e32 v23, v[32:33]
	v_add_co_u32 v32, s0, v30, s6
	s_delay_alu instid0(VALU_DEP_1) | instskip(NEXT) | instid1(VALU_DEP_2)
	v_add_co_ci_u32_e64 v33, s0, s7, v31, s0
	v_add_co_u32 v2, s0, v32, s6
	s_delay_alu instid0(VALU_DEP_1) | instskip(SKIP_2) | instid1(VALU_DEP_1)
	v_add_co_ci_u32_e64 v3, s0, s7, v33, s0
	global_store_b64 v[32:33], v[8:9], off
	v_add_co_u32 v12, s0, v2, s6
	v_add_co_ci_u32_e64 v13, s0, s7, v3, s0
	global_store_b64 v[2:3], v[14:15], off
	v_add_co_u32 v16, s0, v12, s8
	s_delay_alu instid0(VALU_DEP_1) | instskip(NEXT) | instid1(VALU_DEP_2)
	v_add_co_ci_u32_e64 v17, s0, s1, v13, s0
	v_add_co_u32 v18, s0, v16, s6
	s_delay_alu instid0(VALU_DEP_1) | instskip(NEXT) | instid1(VALU_DEP_2)
	v_add_co_ci_u32_e64 v19, s0, s7, v17, s0
	;; [unrolled: 3-line block ×3, first 2 shown]
	v_add_co_u32 v0, s0, v8, s6
	s_delay_alu instid0(VALU_DEP_1)
	v_add_co_ci_u32_e64 v1, s0, s7, v9, s0
	v_cvt_f32_f64_e32 v24, v[24:25]
	v_cvt_f32_f64_e32 v25, v[34:35]
	global_store_b64 v[12:13], v[4:5], off
	global_store_b64 v[16:17], v[6:7], off
	;; [unrolled: 1-line block ×5, first 2 shown]
	s_and_b32 exec_lo, exec_lo, vcc_lo
	s_cbranch_execz .LBB0_23
; %bb.22:
	scratch_load_b64 v[2:3], off, off offset:12 ; 8-byte Folded Reload
	s_mul_i32 s0, s5, 0xffffe320
	s_delay_alu instid0(SALU_CYCLE_1)
	s_sub_i32 s0, s0, s4
	s_waitcnt vmcnt(0)
	global_load_b64 v[2:3], v[2:3], off offset:3584
	ds_load_b64 v[4:5], v255 offset:3584
	ds_load_b64 v[6:7], v255 offset:7504
	;; [unrolled: 1-line block ×4, first 2 shown]
	s_waitcnt vmcnt(0) lgkmcnt(3)
	v_mul_f32_e32 v14, v5, v3
	v_mul_f32_e32 v3, v4, v3
	s_delay_alu instid0(VALU_DEP_2) | instskip(NEXT) | instid1(VALU_DEP_2)
	v_fmac_f32_e32 v14, v4, v2
	v_fma_f32 v4, v2, v5, -v3
	s_delay_alu instid0(VALU_DEP_2) | instskip(SKIP_3) | instid1(VALU_DEP_2)
	v_cvt_f64_f32_e32 v[2:3], v14
	scratch_load_b64 v[14:15], off, off     ; 8-byte Folded Reload
	v_cvt_f64_f32_e32 v[4:5], v4
	v_mul_f64 v[2:3], v[2:3], s[2:3]
	v_mul_f64 v[4:5], v[4:5], s[2:3]
	s_delay_alu instid0(VALU_DEP_2) | instskip(NEXT) | instid1(VALU_DEP_2)
	v_cvt_f32_f64_e32 v2, v[2:3]
	v_cvt_f32_f64_e32 v3, v[4:5]
	s_waitcnt vmcnt(0)
	v_mov_b32_e32 v17, v14
	s_delay_alu instid0(VALU_DEP_1) | instskip(NEXT) | instid1(VALU_DEP_1)
	v_mad_u64_u32 v[14:15], null, s4, v17, 0
	v_mov_b32_e32 v4, v15
	s_delay_alu instid0(VALU_DEP_1) | instskip(NEXT) | instid1(VALU_DEP_1)
	v_mad_u64_u32 v[15:16], null, s5, v17, v[4:5]
	v_lshlrev_b64 v[4:5], 3, v[14:15]
	s_delay_alu instid0(VALU_DEP_1) | instskip(NEXT) | instid1(VALU_DEP_2)
	v_add_co_u32 v4, vcc_lo, v10, v4
	v_add_co_ci_u32_e32 v5, vcc_lo, v11, v5, vcc_lo
	global_store_b64 v[4:5], v[2:3], off
	scratch_load_b64 v[2:3], off, off offset:36 ; 8-byte Folded Reload
	s_waitcnt vmcnt(0)
	global_load_b64 v[2:3], v[2:3], off offset:3408
	s_waitcnt vmcnt(0) lgkmcnt(2)
	v_mul_f32_e32 v4, v7, v3
	v_mul_f32_e32 v3, v6, v3
	s_delay_alu instid0(VALU_DEP_2) | instskip(NEXT) | instid1(VALU_DEP_2)
	v_fmac_f32_e32 v4, v6, v2
	v_fma_f32 v5, v2, v7, -v3
	s_delay_alu instid0(VALU_DEP_2) | instskip(NEXT) | instid1(VALU_DEP_2)
	v_cvt_f64_f32_e32 v[2:3], v4
	v_cvt_f64_f32_e32 v[4:5], v5
	s_delay_alu instid0(VALU_DEP_2) | instskip(NEXT) | instid1(VALU_DEP_2)
	v_mul_f64 v[2:3], v[2:3], s[2:3]
	v_mul_f64 v[4:5], v[4:5], s[2:3]
	s_delay_alu instid0(VALU_DEP_2) | instskip(NEXT) | instid1(VALU_DEP_2)
	v_cvt_f32_f64_e32 v2, v[2:3]
	v_cvt_f32_f64_e32 v3, v[4:5]
	v_mad_u64_u32 v[4:5], null, 0xffffe320, s4, v[0:1]
	scratch_load_b64 v[0:1], off, off offset:28 ; 8-byte Folded Reload
	v_add_nc_u32_e32 v5, s0, v5
	global_store_b64 v[4:5], v[2:3], off
	s_waitcnt vmcnt(0)
	global_load_b64 v[0:1], v[0:1], off offset:3232
	s_waitcnt vmcnt(0) lgkmcnt(1)
	v_mul_f32_e32 v2, v9, v1
	v_mul_f32_e32 v1, v8, v1
	s_delay_alu instid0(VALU_DEP_2) | instskip(NEXT) | instid1(VALU_DEP_2)
	v_fmac_f32_e32 v2, v8, v0
	v_fma_f32 v3, v0, v9, -v1
	s_delay_alu instid0(VALU_DEP_2) | instskip(NEXT) | instid1(VALU_DEP_2)
	v_cvt_f64_f32_e32 v[0:1], v2
	v_cvt_f64_f32_e32 v[2:3], v3
	s_delay_alu instid0(VALU_DEP_2) | instskip(NEXT) | instid1(VALU_DEP_2)
	v_mul_f64 v[0:1], v[0:1], s[2:3]
	v_mul_f64 v[2:3], v[2:3], s[2:3]
	s_delay_alu instid0(VALU_DEP_2) | instskip(NEXT) | instid1(VALU_DEP_2)
	v_cvt_f32_f64_e32 v0, v[0:1]
	v_cvt_f32_f64_e32 v1, v[2:3]
	v_add_co_u32 v2, vcc_lo, v4, s6
	v_add_co_ci_u32_e32 v3, vcc_lo, s7, v5, vcc_lo
	global_store_b64 v[2:3], v[0:1], off
	scratch_load_b64 v[0:1], off, off offset:20 ; 8-byte Folded Reload
	v_add_co_u32 v2, vcc_lo, v2, s6
	v_add_co_ci_u32_e32 v3, vcc_lo, s7, v3, vcc_lo
	s_waitcnt vmcnt(0)
	global_load_b64 v[0:1], v[0:1], off offset:3056
	s_waitcnt vmcnt(0) lgkmcnt(0)
	v_mul_f32_e32 v4, v13, v1
	v_mul_f32_e32 v1, v12, v1
	s_delay_alu instid0(VALU_DEP_2) | instskip(NEXT) | instid1(VALU_DEP_2)
	v_fmac_f32_e32 v4, v12, v0
	v_fma_f32 v5, v0, v13, -v1
	s_delay_alu instid0(VALU_DEP_2) | instskip(NEXT) | instid1(VALU_DEP_2)
	v_cvt_f64_f32_e32 v[0:1], v4
	v_cvt_f64_f32_e32 v[4:5], v5
	s_delay_alu instid0(VALU_DEP_2) | instskip(NEXT) | instid1(VALU_DEP_2)
	v_mul_f64 v[0:1], v[0:1], s[2:3]
	v_mul_f64 v[4:5], v[4:5], s[2:3]
	s_delay_alu instid0(VALU_DEP_2) | instskip(NEXT) | instid1(VALU_DEP_2)
	v_cvt_f32_f64_e32 v0, v[0:1]
	v_cvt_f32_f64_e32 v1, v[4:5]
	global_store_b64 v[2:3], v[0:1], off
.LBB0_23:
	s_nop 0
	s_sendmsg sendmsg(MSG_DEALLOC_VGPRS)
	s_endpgm
	.section	.rodata,"a",@progbits
	.p2align	6, 0x0
	.amdhsa_kernel bluestein_single_fwd_len1960_dim1_sp_op_CI_CI
		.amdhsa_group_segment_fixed_size 15680
		.amdhsa_private_segment_fixed_size 464
		.amdhsa_kernarg_size 104
		.amdhsa_user_sgpr_count 15
		.amdhsa_user_sgpr_dispatch_ptr 0
		.amdhsa_user_sgpr_queue_ptr 0
		.amdhsa_user_sgpr_kernarg_segment_ptr 1
		.amdhsa_user_sgpr_dispatch_id 0
		.amdhsa_user_sgpr_private_segment_size 0
		.amdhsa_wavefront_size32 1
		.amdhsa_uses_dynamic_stack 0
		.amdhsa_enable_private_segment 1
		.amdhsa_system_sgpr_workgroup_id_x 1
		.amdhsa_system_sgpr_workgroup_id_y 0
		.amdhsa_system_sgpr_workgroup_id_z 0
		.amdhsa_system_sgpr_workgroup_info 0
		.amdhsa_system_vgpr_workitem_id 0
		.amdhsa_next_free_vgpr 256
		.amdhsa_next_free_sgpr 20
		.amdhsa_reserve_vcc 1
		.amdhsa_float_round_mode_32 0
		.amdhsa_float_round_mode_16_64 0
		.amdhsa_float_denorm_mode_32 3
		.amdhsa_float_denorm_mode_16_64 3
		.amdhsa_dx10_clamp 1
		.amdhsa_ieee_mode 1
		.amdhsa_fp16_overflow 0
		.amdhsa_workgroup_processor_mode 1
		.amdhsa_memory_ordered 1
		.amdhsa_forward_progress 0
		.amdhsa_shared_vgpr_count 0
		.amdhsa_exception_fp_ieee_invalid_op 0
		.amdhsa_exception_fp_denorm_src 0
		.amdhsa_exception_fp_ieee_div_zero 0
		.amdhsa_exception_fp_ieee_overflow 0
		.amdhsa_exception_fp_ieee_underflow 0
		.amdhsa_exception_fp_ieee_inexact 0
		.amdhsa_exception_int_div_zero 0
	.end_amdhsa_kernel
	.text
.Lfunc_end0:
	.size	bluestein_single_fwd_len1960_dim1_sp_op_CI_CI, .Lfunc_end0-bluestein_single_fwd_len1960_dim1_sp_op_CI_CI
                                        ; -- End function
	.section	.AMDGPU.csdata,"",@progbits
; Kernel info:
; codeLenInByte = 39392
; NumSgprs: 22
; NumVgprs: 256
; ScratchSize: 464
; MemoryBound: 0
; FloatMode: 240
; IeeeMode: 1
; LDSByteSize: 15680 bytes/workgroup (compile time only)
; SGPRBlocks: 2
; VGPRBlocks: 31
; NumSGPRsForWavesPerEU: 22
; NumVGPRsForWavesPerEU: 256
; Occupancy: 4
; WaveLimiterHint : 1
; COMPUTE_PGM_RSRC2:SCRATCH_EN: 1
; COMPUTE_PGM_RSRC2:USER_SGPR: 15
; COMPUTE_PGM_RSRC2:TRAP_HANDLER: 0
; COMPUTE_PGM_RSRC2:TGID_X_EN: 1
; COMPUTE_PGM_RSRC2:TGID_Y_EN: 0
; COMPUTE_PGM_RSRC2:TGID_Z_EN: 0
; COMPUTE_PGM_RSRC2:TIDIG_COMP_CNT: 0
	.text
	.p2alignl 7, 3214868480
	.fill 96, 4, 3214868480
	.type	__hip_cuid_fe0188379d9498e2,@object ; @__hip_cuid_fe0188379d9498e2
	.section	.bss,"aw",@nobits
	.globl	__hip_cuid_fe0188379d9498e2
__hip_cuid_fe0188379d9498e2:
	.byte	0                               ; 0x0
	.size	__hip_cuid_fe0188379d9498e2, 1

	.ident	"AMD clang version 19.0.0git (https://github.com/RadeonOpenCompute/llvm-project roc-6.4.0 25133 c7fe45cf4b819c5991fe208aaa96edf142730f1d)"
	.section	".note.GNU-stack","",@progbits
	.addrsig
	.addrsig_sym __hip_cuid_fe0188379d9498e2
	.amdgpu_metadata
---
amdhsa.kernels:
  - .args:
      - .actual_access:  read_only
        .address_space:  global
        .offset:         0
        .size:           8
        .value_kind:     global_buffer
      - .actual_access:  read_only
        .address_space:  global
        .offset:         8
        .size:           8
        .value_kind:     global_buffer
      - .actual_access:  read_only
        .address_space:  global
        .offset:         16
        .size:           8
        .value_kind:     global_buffer
      - .actual_access:  read_only
        .address_space:  global
        .offset:         24
        .size:           8
        .value_kind:     global_buffer
      - .actual_access:  read_only
        .address_space:  global
        .offset:         32
        .size:           8
        .value_kind:     global_buffer
      - .offset:         40
        .size:           8
        .value_kind:     by_value
      - .address_space:  global
        .offset:         48
        .size:           8
        .value_kind:     global_buffer
      - .address_space:  global
        .offset:         56
        .size:           8
        .value_kind:     global_buffer
      - .address_space:  global
        .offset:         64
        .size:           8
        .value_kind:     global_buffer
      - .address_space:  global
        .offset:         72
        .size:           8
        .value_kind:     global_buffer
      - .offset:         80
        .size:           4
        .value_kind:     by_value
      - .address_space:  global
        .offset:         88
        .size:           8
        .value_kind:     global_buffer
      - .address_space:  global
        .offset:         96
        .size:           8
        .value_kind:     global_buffer
    .group_segment_fixed_size: 15680
    .kernarg_segment_align: 8
    .kernarg_segment_size: 104
    .language:       OpenCL C
    .language_version:
      - 2
      - 0
    .max_flat_workgroup_size: 56
    .name:           bluestein_single_fwd_len1960_dim1_sp_op_CI_CI
    .private_segment_fixed_size: 464
    .sgpr_count:     22
    .sgpr_spill_count: 0
    .symbol:         bluestein_single_fwd_len1960_dim1_sp_op_CI_CI.kd
    .uniform_work_group_size: 1
    .uses_dynamic_stack: false
    .vgpr_count:     256
    .vgpr_spill_count: 115
    .wavefront_size: 32
    .workgroup_processor_mode: 1
amdhsa.target:   amdgcn-amd-amdhsa--gfx1100
amdhsa.version:
  - 1
  - 2
...

	.end_amdgpu_metadata
